;; amdgpu-corpus repo=ROCm/rocFFT kind=compiled arch=gfx1201 opt=O3
	.text
	.amdgcn_target "amdgcn-amd-amdhsa--gfx1201"
	.amdhsa_code_object_version 6
	.protected	bluestein_single_back_len1638_dim1_sp_op_CI_CI ; -- Begin function bluestein_single_back_len1638_dim1_sp_op_CI_CI
	.globl	bluestein_single_back_len1638_dim1_sp_op_CI_CI
	.p2align	8
	.type	bluestein_single_back_len1638_dim1_sp_op_CI_CI,@function
bluestein_single_back_len1638_dim1_sp_op_CI_CI: ; @bluestein_single_back_len1638_dim1_sp_op_CI_CI
; %bb.0:
	s_load_b128 s[8:11], s[0:1], 0x28
	v_mul_u32_u24_e32 v1, 0x169, v0
	s_mov_b32 s2, exec_lo
	v_mov_b32_e32 v75, 0
	s_delay_alu instid0(VALU_DEP_2) | instskip(NEXT) | instid1(VALU_DEP_1)
	v_lshrrev_b32_e32 v1, 16, v1
	v_add_nc_u32_e32 v74, ttmp9, v1
	s_wait_kmcnt 0x0
	s_delay_alu instid0(VALU_DEP_1)
	v_cmpx_gt_u64_e64 s[8:9], v[74:75]
	s_cbranch_execz .LBB0_31
; %bb.1:
	s_clause 0x1
	s_load_b64 s[8:9], s[0:1], 0x0
	s_load_b64 s[12:13], s[0:1], 0x38
	v_mul_lo_u16 v1, 0xb6, v1
	s_delay_alu instid0(VALU_DEP_1) | instskip(NEXT) | instid1(VALU_DEP_1)
	v_sub_nc_u16 v0, v0, v1
	v_and_b32_e32 v98, 0xffff, v0
	v_cmp_gt_u16_e32 vcc_lo, 0x7e, v0
	s_delay_alu instid0(VALU_DEP_2)
	v_lshlrev_b32_e32 v97, 3, v98
	s_and_saveexec_b32 s3, vcc_lo
	s_cbranch_execz .LBB0_3
; %bb.2:
	s_load_b64 s[4:5], s[0:1], 0x18
	s_delay_alu instid0(VALU_DEP_1)
	v_add_nc_u32_e32 v54, 0x400, v97
	v_add_nc_u32_e32 v56, 0x1400, v97
	s_wait_kmcnt 0x0
	s_load_b128 s[4:7], s[4:5], 0x0
	s_wait_kmcnt 0x0
	v_mad_co_u64_u32 v[0:1], null, s6, v74, 0
	v_mad_co_u64_u32 v[2:3], null, s4, v98, 0
	s_delay_alu instid0(VALU_DEP_1) | instskip(NEXT) | instid1(VALU_DEP_1)
	v_mad_co_u64_u32 v[4:5], null, s7, v74, v[1:2]
	v_mad_co_u64_u32 v[5:6], null, s5, v98, v[3:4]
	v_mov_b32_e32 v1, v4
	s_mul_u64 s[4:5], s[4:5], 0x3f0
	s_delay_alu instid0(VALU_DEP_1) | instskip(NEXT) | instid1(VALU_DEP_3)
	v_lshlrev_b64_e32 v[0:1], 3, v[0:1]
	v_mov_b32_e32 v3, v5
	s_delay_alu instid0(VALU_DEP_2) | instskip(NEXT) | instid1(VALU_DEP_2)
	v_add_co_u32 v10, s2, s10, v0
	v_lshlrev_b64_e32 v[2:3], 3, v[2:3]
	s_delay_alu instid0(VALU_DEP_4)
	v_add_co_ci_u32_e64 v11, s2, s11, v1, s2
	s_clause 0xa
	global_load_b64 v[0:1], v97, s[8:9]
	global_load_b64 v[4:5], v97, s[8:9] offset:1008
	global_load_b64 v[6:7], v97, s[8:9] offset:2016
	;; [unrolled: 1-line block ×10, first 2 shown]
	v_add_co_u32 v2, s2, v10, v2
	s_wait_alu 0xf1ff
	v_add_co_ci_u32_e64 v3, s2, v11, v3, s2
	s_wait_alu 0xfffe
	s_delay_alu instid0(VALU_DEP_2) | instskip(SKIP_1) | instid1(VALU_DEP_2)
	v_add_co_u32 v10, s2, v2, s4
	s_wait_alu 0xf1ff
	v_add_co_ci_u32_e64 v11, s2, s5, v3, s2
	global_load_b64 v[2:3], v[2:3], off
	v_add_co_u32 v20, s2, v10, s4
	s_wait_alu 0xf1ff
	v_add_co_ci_u32_e64 v21, s2, s5, v11, s2
	s_delay_alu instid0(VALU_DEP_2) | instskip(SKIP_1) | instid1(VALU_DEP_2)
	v_add_co_u32 v28, s2, v20, s4
	s_wait_alu 0xf1ff
	v_add_co_ci_u32_e64 v29, s2, s5, v21, s2
	s_delay_alu instid0(VALU_DEP_2) | instskip(SKIP_1) | instid1(VALU_DEP_2)
	v_add_co_u32 v30, s2, v28, s4
	s_wait_alu 0xf1ff
	v_add_co_ci_u32_e64 v31, s2, s5, v29, s2
	s_clause 0x2
	global_load_b64 v[10:11], v[10:11], off
	global_load_b64 v[20:21], v[20:21], off
	;; [unrolled: 1-line block ×3, first 2 shown]
	v_add_co_u32 v32, s2, v30, s4
	s_wait_alu 0xf1ff
	v_add_co_ci_u32_e64 v33, s2, s5, v31, s2
	global_load_b64 v[30:31], v[30:31], off
	v_add_co_u32 v34, s2, v32, s4
	s_wait_alu 0xf1ff
	v_add_co_ci_u32_e64 v35, s2, s5, v33, s2
	global_load_b64 v[32:33], v[32:33], off
	;; [unrolled: 4-line block ×7, first 2 shown]
	v_add_co_u32 v46, s2, v44, s4
	s_wait_alu 0xf1ff
	v_add_co_ci_u32_e64 v47, s2, s5, v45, s2
	global_load_b64 v[48:49], v97, s[8:9] offset:11088
	global_load_b64 v[44:45], v[44:45], off
	global_load_b64 v[50:51], v97, s[8:9] offset:12096
	global_load_b64 v[46:47], v[46:47], off
	v_add_nc_u32_e32 v58, 0x2400, v97
	s_wait_loadcnt 0xe
	v_mul_f32_e32 v52, v3, v1
	v_mul_f32_e32 v53, v2, v1
	s_delay_alu instid0(VALU_DEP_1)
	v_fma_f32 v53, v3, v0, -v53
	s_wait_loadcnt 0xd
	v_mul_f32_e32 v1, v11, v5
	s_wait_loadcnt 0xc
	v_mul_f32_e32 v3, v21, v7
	v_mul_f32_e32 v7, v20, v7
	s_delay_alu instid0(VALU_DEP_3)
	v_fmac_f32_e32 v1, v10, v4
	v_dual_fmac_f32 v52, v2, v0 :: v_dual_add_nc_u32 v55, 0xc00, v97
	v_mul_f32_e32 v0, v10, v5
	s_wait_loadcnt 0xb
	v_mul_f32_e32 v5, v29, v9
	v_mul_f32_e32 v9, v28, v9
	v_fmac_f32_e32 v3, v20, v6
	v_fma_f32 v2, v11, v4, -v0
	s_wait_loadcnt 0xa
	v_mul_f32_e32 v0, v31, v13
	v_fma_f32 v4, v21, v6, -v7
	v_fmac_f32_e32 v5, v28, v8
	v_fma_f32 v6, v29, v8, -v9
	ds_store_2addr_b64 v97, v[52:53], v[1:2] offset1:126
	v_dual_fmac_f32 v0, v30, v12 :: v_dual_add_nc_u32 v57, 0x1c00, v97
	s_wait_loadcnt 0x9
	v_mul_f32_e32 v2, v33, v15
	ds_store_2addr_b64 v54, v[3:4], v[5:6] offset0:124 offset1:250
	s_wait_loadcnt 0x7
	v_dual_mul_f32 v6, v37, v19 :: v_dual_mul_f32 v7, v30, v13
	v_dual_mul_f32 v3, v32, v15 :: v_dual_mul_f32 v4, v35, v17
	s_wait_loadcnt 0x6
	v_dual_mul_f32 v5, v34, v17 :: v_dual_mul_f32 v8, v39, v23
	s_delay_alu instid0(VALU_DEP_3)
	v_fmac_f32_e32 v6, v36, v18
	v_fma_f32 v1, v31, v12, -v7
	v_mul_f32_e32 v7, v36, v19
	s_wait_loadcnt 0x5
	v_mul_f32_e32 v11, v40, v25
	v_dual_mul_f32 v10, v41, v25 :: v_dual_mul_f32 v9, v38, v23
	v_fmac_f32_e32 v2, v32, v14
	v_fma_f32 v3, v33, v14, -v3
	s_wait_loadcnt 0x4
	v_mul_f32_e32 v12, v43, v27
	v_dual_fmac_f32 v10, v40, v24 :: v_dual_mul_f32 v13, v42, v27
	s_wait_loadcnt 0x2
	v_mul_f32_e32 v14, v45, v49
	s_delay_alu instid0(VALU_DEP_3)
	v_dual_mul_f32 v15, v44, v49 :: v_dual_fmac_f32 v12, v42, v26
	v_fmac_f32_e32 v4, v34, v16
	v_fma_f32 v5, v35, v16, -v5
	s_wait_loadcnt 0x0
	v_mul_f32_e32 v16, v47, v51
	v_dual_mul_f32 v17, v46, v51 :: v_dual_fmac_f32 v14, v44, v48
	v_fmac_f32_e32 v8, v38, v22
	v_fma_f32 v7, v37, v18, -v7
	v_fma_f32 v9, v39, v22, -v9
	;; [unrolled: 1-line block ×5, first 2 shown]
	v_fmac_f32_e32 v16, v46, v50
	v_fma_f32 v17, v47, v50, -v17
	ds_store_2addr_b64 v55, v[0:1], v[2:3] offset0:120 offset1:246
	ds_store_2addr_b64 v56, v[4:5], v[6:7] offset0:116 offset1:242
	;; [unrolled: 1-line block ×4, first 2 shown]
	ds_store_b64 v97, v[16:17] offset:12096
.LBB0_3:
	s_or_b32 exec_lo, exec_lo, s3
	v_mov_b32_e32 v0, 0
	v_mov_b32_e32 v1, 0
                                        ; kill: def $vgpr2 killed $sgpr0 killed $exec
	global_wb scope:SCOPE_SE
	s_wait_dscnt 0x0
	s_wait_kmcnt 0x0
	s_barrier_signal -1
	s_barrier_wait -1
	global_inv scope:SCOPE_SE
                                        ; implicit-def: $vgpr4
                                        ; implicit-def: $vgpr24
                                        ; implicit-def: $vgpr10
                                        ; implicit-def: $vgpr14
                                        ; implicit-def: $vgpr18
                                        ; implicit-def: $vgpr22
	s_and_saveexec_b32 s2, vcc_lo
	s_cbranch_execz .LBB0_5
; %bb.4:
	v_add_nc_u32_e32 v4, 0x400, v97
	v_add_nc_u32_e32 v5, 0xc00, v97
	;; [unrolled: 1-line block ×5, first 2 shown]
	ds_load_2addr_b64 v[0:3], v97 offset1:126
	ds_load_2addr_b64 v[20:23], v4 offset0:124 offset1:250
	ds_load_2addr_b64 v[16:19], v5 offset0:120 offset1:246
	ds_load_2addr_b64 v[12:15], v6 offset0:116 offset1:242
	ds_load_2addr_b64 v[8:11], v7 offset0:112 offset1:238
	ds_load_2addr_b64 v[4:7], v24 offset0:108 offset1:234
	ds_load_b64 v[24:25], v97 offset:12096
.LBB0_5:
	s_wait_alu 0xfffe
	s_or_b32 exec_lo, exec_lo, s2
	s_wait_dscnt 0x0
	v_sub_f32_e32 v68, v2, v24
	v_sub_f32_e32 v76, v3, v25
	v_add_f32_e32 v72, v25, v3
	s_clause 0x1
	s_load_b64 s[2:3], s[0:1], 0x20
	s_load_b64 s[10:11], s[0:1], 0x8
	global_wb scope:SCOPE_SE
	v_dual_mul_f32 v31, 0xbeedf032, v68 :: v_dual_add_f32 v64, v24, v2
	v_mul_f32_e32 v35, 0xbf52af12, v76
	v_dual_mul_f32 v42, 0xbf7e222b, v76 :: v_dual_add_f32 v69, v7, v21
	s_delay_alu instid0(VALU_DEP_3) | instskip(NEXT) | instid1(VALU_DEP_3)
	v_fma_f32 v27, 0x3f62ad3f, v72, -v31
	v_dual_add_f32 v67, v6, v20 :: v_dual_fmamk_f32 v28, v64, 0x3f116cb1, v35
	s_wait_kmcnt 0x0
	s_barrier_signal -1
	s_barrier_wait -1
	v_add_f32_e32 v27, v27, v1
	v_mul_f32_e32 v39, 0xbf52af12, v68
	v_dual_mul_f32 v45, 0xbf7e222b, v68 :: v_dual_sub_f32 v78, v20, v6
	global_inv scope:SCOPE_SE
	v_sub_f32_e32 v83, v21, v7
	v_fma_f32 v29, 0x3f116cb1, v72, -v39
	v_mul_f32_e32 v30, 0xbeedf032, v76
	v_fma_f32 v34, 0x3df6dbef, v72, -v45
	v_fmamk_f32 v32, v64, 0x3df6dbef, v42
	v_dual_add_f32 v28, v28, v0 :: v_dual_mul_f32 v41, 0xbf6f5d39, v83
	s_delay_alu instid0(VALU_DEP_4) | instskip(SKIP_1) | instid1(VALU_DEP_4)
	v_dual_add_f32 v29, v29, v1 :: v_dual_fmamk_f32 v26, v64, 0x3f62ad3f, v30
	v_mul_f32_e32 v33, 0xbf52af12, v78
	v_dual_add_f32 v43, v34, v1 :: v_dual_add_f32 v36, v32, v0
	v_mul_f32_e32 v122, 0x3f7e222b, v78
	s_delay_alu instid0(VALU_DEP_4)
	v_add_f32_e32 v26, v26, v0
	v_dual_mul_f32 v100, 0x3f29c268, v83 :: v_dual_mul_f32 v107, 0x3f29c268, v78
	v_fma_f32 v38, 0x3f116cb1, v69, -v33
	v_mul_f32_e32 v44, 0xbf6f5d39, v78
	v_dual_fmamk_f32 v40, v67, 0xbeb58ec6, v41 :: v_dual_add_f32 v71, v5, v23
	v_mul_f32_e32 v51, 0xbe750f2a, v78
	s_delay_alu instid0(VALU_DEP_4) | instskip(NEXT) | instid1(VALU_DEP_4)
	v_add_f32_e32 v27, v38, v27
	v_fma_f32 v34, 0xbeb58ec6, v69, -v44
	v_mul_f32_e32 v32, 0xbf52af12, v83
	v_add_f32_e32 v28, v40, v28
	v_fma_f32 v40, 0xbf788fa5, v69, -v51
	v_fma_f32 v112, 0x3df6dbef, v69, -v122
	v_add_f32_e32 v29, v34, v29
	v_fmamk_f32 v37, v67, 0x3f116cb1, v32
	v_dual_sub_f32 v89, v23, v5 :: v_dual_mul_f32 v48, 0xbe750f2a, v83
	v_sub_f32_e32 v93, v17, v11
	s_delay_alu instid0(VALU_DEP_3) | instskip(NEXT) | instid1(VALU_DEP_3)
	v_dual_add_f32 v77, v10, v16 :: v_dual_add_f32 v26, v37, v26
	v_dual_mul_f32 v47, 0xbe750f2a, v89 :: v_dual_sub_f32 v86, v22, v4
	s_delay_alu instid0(VALU_DEP_4)
	v_fmamk_f32 v37, v67, 0xbf788fa5, v48
	v_mul_f32_e32 v34, 0xbf7e222b, v89
	v_mul_f32_e32 v116, 0x3e750f2a, v93
	v_add_f32_e32 v52, v40, v43
	v_mul_f32_e32 v38, 0xbf7e222b, v86
	v_mul_f32_e32 v50, 0xbe750f2a, v86
	v_dual_mul_f32 v40, 0xbf6f5d39, v93 :: v_dual_sub_f32 v91, v16, v10
	v_add_f32_e32 v79, v11, v17
	s_delay_alu instid0(VALU_DEP_4)
	v_fma_f32 v46, 0x3df6dbef, v71, -v38
	v_add_f32_e32 v70, v4, v22
	v_mul_f32_e32 v108, 0x3eedf032, v86
	v_mul_f32_e32 v123, 0xbf52af12, v86
	;; [unrolled: 1-line block ×3, first 2 shown]
	v_add_f32_e32 v27, v46, v27
	v_dual_fmamk_f32 v49, v70, 0xbf788fa5, v47 :: v_dual_add_f32 v36, v37, v36
	v_fmamk_f32 v37, v70, 0x3df6dbef, v34
	v_mul_f32_e32 v55, 0x3f6f5d39, v89
	v_dual_mul_f32 v43, 0xbf6f5d39, v91 :: v_dual_sub_f32 v104, v18, v8
	s_delay_alu instid0(VALU_DEP_4) | instskip(NEXT) | instid1(VALU_DEP_4)
	v_add_f32_e32 v28, v49, v28
	v_add_f32_e32 v26, v37, v26
	v_fma_f32 v37, 0xbf788fa5, v71, -v50
	v_fma_f32 v46, 0xbeb58ec6, v71, -v65
	v_fmamk_f32 v49, v77, 0xbeb58ec6, v40
	v_mul_f32_e32 v62, 0x3f29c268, v91
	v_add_f32_e32 v82, v9, v19
	s_delay_alu instid0(VALU_DEP_4) | instskip(NEXT) | instid1(VALU_DEP_4)
	v_dual_add_f32 v29, v37, v29 :: v_dual_add_f32 v60, v46, v52
	v_dual_fmamk_f32 v37, v70, 0xbeb58ec6, v55 :: v_dual_add_f32 v26, v49, v26
	v_mul_f32_e32 v49, 0xbf29c268, v104
	v_dual_mul_f32 v92, 0x3eedf032, v89 :: v_dual_mul_f32 v119, 0x3eedf032, v104
	s_delay_alu instid0(VALU_DEP_3)
	v_dual_add_f32 v59, v37, v36 :: v_dual_mul_f32 v56, 0x3f29c268, v93
	v_sub_f32_e32 v109, v19, v9
	v_fma_f32 v36, 0xbeb58ec6, v79, -v43
	v_fma_f32 v37, 0xbf3f9e67, v79, -v62
	v_add_f32_e32 v87, v14, v12
	v_fma_f32 v96, 0x3f62ad3f, v71, -v108
	s_delay_alu instid0(VALU_DEP_4) | instskip(SKIP_4) | instid1(VALU_DEP_4)
	v_dual_mul_f32 v102, 0x3e750f2a, v104 :: v_dual_add_f32 v27, v36, v27
	v_dual_fmamk_f32 v36, v77, 0xbf3f9e67, v56 :: v_dual_add_f32 v81, v8, v18
	v_mul_f32_e32 v46, 0xbf29c268, v109
	v_mul_f32_e32 v54, 0x3f7e222b, v109
	v_sub_f32_e32 v106, v12, v14
	v_dual_add_f32 v28, v36, v28 :: v_dual_add_f32 v29, v37, v29
	s_delay_alu instid0(VALU_DEP_4) | instskip(SKIP_2) | instid1(VALU_DEP_3)
	v_fmamk_f32 v52, v81, 0xbf3f9e67, v46
	v_fma_f32 v36, 0xbf3f9e67, v82, -v49
	v_dual_mul_f32 v66, 0x3f7e222b, v104 :: v_dual_sub_f32 v111, v13, v15
	v_dual_fmamk_f32 v37, v81, 0x3df6dbef, v54 :: v_dual_add_f32 v26, v52, v26
	v_dual_add_f32 v88, v15, v13 :: v_dual_mul_f32 v53, 0xbe750f2a, v106
	s_delay_alu instid0(VALU_DEP_4) | instskip(NEXT) | instid1(VALU_DEP_4)
	v_add_f32_e32 v27, v36, v27
	v_fma_f32 v36, 0x3df6dbef, v82, -v66
	v_mul_f32_e32 v52, 0xbe750f2a, v111
	v_dual_mul_f32 v63, 0x3eedf032, v106 :: v_dual_mul_f32 v84, 0x3eedf032, v91
	v_fma_f32 v58, 0xbf788fa5, v88, -v53
	s_delay_alu instid0(VALU_DEP_4) | instskip(NEXT) | instid1(VALU_DEP_4)
	v_dual_add_f32 v29, v36, v29 :: v_dual_add_f32 v28, v37, v28
	v_fmamk_f32 v37, v87, 0xbf788fa5, v52
	v_mul_f32_e32 v57, 0x3eedf032, v111
	v_fma_f32 v80, 0x3f62ad3f, v79, -v84
	v_mul_f32_e32 v120, 0x3e750f2a, v91
	v_fma_f32 v126, 0x3f62ad3f, v82, -v119
	v_dual_add_f32 v36, v37, v26 :: v_dual_add_f32 v37, v58, v27
	v_fmamk_f32 v26, v87, 0x3f62ad3f, v57
	v_mul_f32_e32 v73, 0x3eedf032, v93
	v_fma_f32 v27, 0x3f62ad3f, v88, -v63
	v_mul_f32_e32 v118, 0xbf6f5d39, v106
	s_delay_alu instid0(VALU_DEP_4) | instskip(NEXT) | instid1(VALU_DEP_4)
	v_dual_mul_f32 v95, 0xbf7e222b, v93 :: v_dual_add_f32 v58, v26, v28
	v_dual_fmamk_f32 v61, v77, 0x3f62ad3f, v73 :: v_dual_add_f32 v28, v80, v60
	v_mul_f32_e32 v75, 0xbf52af12, v109
	v_dual_mul_f32 v80, 0xbf29c268, v111 :: v_dual_mul_f32 v113, 0xbf29c268, v76
	s_delay_alu instid0(VALU_DEP_3) | instskip(NEXT) | instid1(VALU_DEP_3)
	v_dual_add_f32 v26, v61, v59 :: v_dual_add_f32 v59, v27, v29
	v_fmamk_f32 v60, v81, 0x3f116cb1, v75
	v_mul_f32_e32 v85, 0xbf52af12, v104
	s_delay_alu instid0(VALU_DEP_4) | instskip(SKIP_1) | instid1(VALU_DEP_4)
	v_fmamk_f32 v90, v87, 0xbf3f9e67, v80
	v_fma_f32 v129, 0xbeb58ec6, v88, -v118
	v_dual_mul_f32 v121, 0xbf29c268, v68 :: v_dual_add_f32 v26, v60, v26
	v_mul_f32_e32 v105, 0xbf6f5d39, v68
	v_fma_f32 v61, 0x3f116cb1, v82, -v85
	v_fmamk_f32 v60, v67, 0xbf3f9e67, v100
	v_mul_f32_e32 v103, 0x3f52af12, v111
	v_mul_f32_e32 v115, 0xbf52af12, v89
	v_fma_f32 v29, 0xbeb58ec6, v72, -v105
	v_mul_f32_e32 v94, 0xbf6f5d39, v76
	v_fmamk_f32 v117, v77, 0xbf788fa5, v116
	s_delay_alu instid0(VALU_DEP_3) | instskip(NEXT) | instid1(VALU_DEP_3)
	v_dual_fmamk_f32 v124, v87, 0x3f116cb1, v103 :: v_dual_add_f32 v29, v29, v1
	v_dual_add_f32 v27, v61, v28 :: v_dual_fmamk_f32 v28, v64, 0xbeb58ec6, v94
	v_fma_f32 v61, 0xbf3f9e67, v69, -v107
	s_delay_alu instid0(VALU_DEP_1) | instskip(NEXT) | instid1(VALU_DEP_1)
	v_dual_add_f32 v28, v28, v0 :: v_dual_add_f32 v29, v61, v29
	v_dual_fmamk_f32 v61, v70, 0x3f62ad3f, v92 :: v_dual_add_f32 v28, v60, v28
	v_dual_mul_f32 v101, 0xbf7e222b, v91 :: v_dual_add_f32 v60, v90, v26
	v_mul_f32_e32 v90, 0xbf29c268, v106
	s_delay_alu instid0(VALU_DEP_3) | instskip(SKIP_4) | instid1(VALU_DEP_4)
	v_add_f32_e32 v26, v61, v28
	v_dual_add_f32 v28, v96, v29 :: v_dual_fmamk_f32 v29, v77, 0x3df6dbef, v95
	v_mul_f32_e32 v96, 0x3e750f2a, v109
	v_fma_f32 v61, 0x3df6dbef, v79, -v101
	v_fma_f32 v99, 0xbf3f9e67, v88, -v90
	v_add_f32_e32 v26, v29, v26
	s_delay_alu instid0(VALU_DEP_4) | instskip(NEXT) | instid1(VALU_DEP_4)
	v_fmamk_f32 v29, v81, 0xbf788fa5, v96
	v_add_f32_e32 v28, v61, v28
	v_fma_f32 v61, 0xbf788fa5, v82, -v102
	s_delay_alu instid0(VALU_DEP_3) | instskip(NEXT) | instid1(VALU_DEP_2)
	v_add_f32_e32 v26, v29, v26
	v_add_f32_e32 v29, v61, v28
	v_fma_f32 v61, 0xbf3f9e67, v72, -v121
	s_delay_alu instid0(VALU_DEP_1) | instskip(NEXT) | instid1(VALU_DEP_1)
	v_dual_fmamk_f32 v28, v64, 0xbf3f9e67, v113 :: v_dual_add_f32 v61, v61, v1
	v_add_f32_e32 v61, v112, v61
	v_fma_f32 v112, 0x3f116cb1, v71, -v123
	s_delay_alu instid0(VALU_DEP_1) | instskip(SKIP_1) | instid1(VALU_DEP_1)
	v_add_f32_e32 v61, v112, v61
	v_fma_f32 v112, 0xbf788fa5, v79, -v120
	v_dual_mul_f32 v114, 0x3f7e222b, v83 :: v_dual_add_f32 v61, v112, v61
	v_mul_f32_e32 v112, 0xbf6f5d39, v111
	s_delay_alu instid0(VALU_DEP_2) | instskip(NEXT) | instid1(VALU_DEP_3)
	v_add_f32_e32 v126, v126, v61
	v_fmamk_f32 v110, v67, 0x3df6dbef, v114
	v_dual_add_f32 v61, v99, v27 :: v_dual_add_f32 v28, v28, v0
	s_delay_alu instid0(VALU_DEP_3) | instskip(SKIP_1) | instid1(VALU_DEP_3)
	v_dual_fmamk_f32 v128, v87, 0xbeb58ec6, v112 :: v_dual_add_f32 v27, v129, v126
	v_mul_lo_u16 v99, v98, 13
	v_add_f32_e32 v28, v110, v28
	v_fmamk_f32 v110, v70, 0x3f116cb1, v115
	s_delay_alu instid0(VALU_DEP_1) | instskip(SKIP_1) | instid1(VALU_DEP_2)
	v_add_f32_e32 v28, v110, v28
	v_mul_f32_e32 v110, 0x3f52af12, v106
	v_dual_add_f32 v28, v117, v28 :: v_dual_mul_f32 v117, 0x3eedf032, v109
	s_delay_alu instid0(VALU_DEP_2) | instskip(NEXT) | instid1(VALU_DEP_2)
	v_fma_f32 v127, 0x3f116cb1, v88, -v110
	v_fmamk_f32 v125, v81, 0x3f62ad3f, v117
	s_delay_alu instid0(VALU_DEP_2) | instskip(NEXT) | instid1(VALU_DEP_2)
	v_add_f32_e32 v29, v127, v29
	v_dual_add_f32 v125, v125, v28 :: v_dual_add_f32 v28, v124, v26
	s_delay_alu instid0(VALU_DEP_1)
	v_add_f32_e32 v26, v128, v125
	s_and_saveexec_b32 s0, vcc_lo
	s_cbranch_execz .LBB0_7
; %bb.6:
	v_dual_mul_f32 v127, 0x3f62ad3f, v72 :: v_dual_mul_f32 v132, 0x3f62ad3f, v69
	v_mul_f32_e32 v83, 0x3eedf032, v83
	v_dual_mul_f32 v134, 0xbeb58ec6, v72 :: v_dual_mul_f32 v141, 0xbeb58ec6, v82
	v_mul_f32_e32 v111, 0x3f7e222b, v111
	s_delay_alu instid0(VALU_DEP_4)
	v_fmamk_f32 v135, v78, 0xbeedf032, v132
	v_fmac_f32_e32 v132, 0x3eedf032, v78
	v_fmamk_f32 v139, v67, 0x3f62ad3f, v83
	v_mul_f32_e32 v76, 0xbe750f2a, v76
	v_mul_f32_e32 v124, 0xbf788fa5, v72
	v_dual_mul_f32 v129, 0x3f116cb1, v72 :: v_dual_mul_f32 v140, 0x3f116cb1, v67
	v_dual_add_f32 v105, v105, v134 :: v_dual_mul_f32 v134, 0xbeb58ec6, v88
	s_delay_alu instid0(VALU_DEP_4) | instskip(SKIP_1) | instid1(VALU_DEP_4)
	v_fmamk_f32 v137, v64, 0xbf788fa5, v76
	v_dual_mul_f32 v136, 0xbf3f9e67, v71 :: v_dual_add_f32 v3, v3, v1
	v_add_f32_e32 v39, v39, v129
	s_delay_alu instid0(VALU_DEP_4) | instskip(NEXT) | instid1(VALU_DEP_4)
	v_add_f32_e32 v105, v105, v1
	v_add_f32_e32 v137, v137, v0
	v_dual_mul_f32 v89, 0xbf29c268, v89 :: v_dual_add_f32 v118, v118, v134
	v_add_f32_e32 v3, v21, v3
	v_add_f32_e32 v39, v39, v1
	s_delay_alu instid0(VALU_DEP_3) | instskip(SKIP_3) | instid1(VALU_DEP_4)
	v_dual_add_f32 v137, v139, v137 :: v_dual_fmamk_f32 v78, v70, 0xbf3f9e67, v89
	v_fmamk_f32 v125, v68, 0x3e750f2a, v124
	v_fmac_f32_e32 v124, 0xbe750f2a, v68
	v_mul_f32_e32 v131, 0x3df6dbef, v72
	v_dual_add_f32 v3, v23, v3 :: v_dual_add_f32 v78, v78, v137
	s_delay_alu instid0(VALU_DEP_4) | instskip(NEXT) | instid1(VALU_DEP_4)
	v_dual_mul_f32 v126, 0x3f62ad3f, v64 :: v_dual_add_f32 v125, v125, v1
	v_dual_add_f32 v124, v124, v1 :: v_dual_mul_f32 v137, 0x3df6dbef, v88
	s_delay_alu instid0(VALU_DEP_3) | instskip(NEXT) | instid1(VALU_DEP_3)
	v_add_f32_e32 v3, v17, v3
	v_sub_f32_e32 v17, v126, v30
	s_delay_alu instid0(VALU_DEP_3)
	v_dual_add_f32 v45, v45, v131 :: v_dual_add_f32 v124, v132, v124
	v_dual_mul_f32 v128, 0x3f116cb1, v64 :: v_dual_add_f32 v125, v135, v125
	v_fmamk_f32 v135, v86, 0x3f29c268, v136
	v_mul_f32_e32 v130, 0x3df6dbef, v64
	v_fmac_f32_e32 v136, 0xbf29c268, v86
	v_mul_f32_e32 v86, 0xbf6f5d39, v109
	v_fmamk_f32 v109, v104, 0x3f6f5d39, v141
	v_add_f32_e32 v125, v135, v125
	s_delay_alu instid0(VALU_DEP_4) | instskip(SKIP_3) | instid1(VALU_DEP_4)
	v_dual_mul_f32 v135, 0x3f116cb1, v79 :: v_dual_add_f32 v124, v136, v124
	v_fmamk_f32 v136, v87, 0x3df6dbef, v111
	v_mul_f32_e32 v93, 0x3f52af12, v93
	v_fmac_f32_e32 v141, 0xbf6f5d39, v104
	v_fmamk_f32 v68, v91, 0xbf52af12, v135
	v_dual_mul_f32 v133, 0xbeb58ec6, v64 :: v_dual_mul_f32 v132, 0xbeb58ec6, v67
	v_dual_mul_f32 v104, 0xbf788fa5, v69 :: v_dual_add_f32 v3, v19, v3
	s_delay_alu instid0(VALU_DEP_3) | instskip(NEXT) | instid1(VALU_DEP_3)
	v_add_f32_e32 v68, v68, v125
	v_dual_sub_f32 v94, v133, v94 :: v_dual_mul_f32 v133, 0xbf3f9e67, v88
	v_add_f32_e32 v45, v45, v1
	s_delay_alu instid0(VALU_DEP_4) | instskip(NEXT) | instid1(VALU_DEP_4)
	v_add_f32_e32 v3, v13, v3
	v_dual_add_f32 v68, v109, v68 :: v_dual_fmac_f32 v135, 0x3f52af12, v91
	v_mul_f32_e32 v91, 0xbeb58ec6, v69
	v_fmamk_f32 v109, v106, 0xbf7e222b, v137
	v_mul_f32_e32 v142, 0xbf788fa5, v67
	v_add_f32_e32 v3, v15, v3
	v_add_f32_e32 v135, v135, v124
	v_mul_f32_e32 v138, 0xbf3f9e67, v64
	v_fma_f32 v64, 0xbf788fa5, v64, -v76
	v_fmamk_f32 v125, v77, 0x3f116cb1, v93
	v_dual_mul_f32 v76, 0x3df6dbef, v70 :: v_dual_add_f32 v3, v9, v3
	v_add_f32_e32 v2, v2, v0
	s_delay_alu instid0(VALU_DEP_4) | instskip(NEXT) | instid1(VALU_DEP_4)
	v_add_f32_e32 v64, v64, v0
	v_add_f32_e32 v78, v125, v78
	v_fmamk_f32 v125, v81, 0xbeb58ec6, v86
	v_mul_f32_e32 v139, 0x3f116cb1, v69
	v_fma_f32 v86, 0xbeb58ec6, v81, -v86
	v_dual_add_f32 v3, v11, v3 :: v_dual_add_f32 v20, v20, v2
	s_delay_alu instid0(VALU_DEP_4) | instskip(SKIP_3) | instid1(VALU_DEP_4)
	v_add_f32_e32 v78, v125, v78
	v_add_f32_e32 v125, v109, v68
	;; [unrolled: 1-line block ×3, first 2 shown]
	v_dual_mul_f32 v68, 0xbf3f9e67, v67 :: v_dual_sub_f32 v113, v138, v113
	v_add_f32_e32 v124, v136, v78
	v_mul_f32_e32 v78, 0xbf3f9e67, v69
	v_mul_f32_e32 v69, 0x3df6dbef, v69
	;; [unrolled: 1-line block ×4, first 2 shown]
	v_fma_f32 v67, 0x3f62ad3f, v67, -v83
	v_mul_f32_e32 v83, 0x3df6dbef, v71
	s_delay_alu instid0(VALU_DEP_4) | instskip(NEXT) | instid1(VALU_DEP_4)
	v_dual_add_f32 v69, v122, v69 :: v_dual_add_f32 v72, v121, v72
	v_sub_f32_e32 v114, v135, v114
	s_delay_alu instid0(VALU_DEP_4) | instskip(SKIP_1) | instid1(VALU_DEP_4)
	v_add_f32_e32 v64, v67, v64
	v_dual_mul_f32 v122, 0xbf788fa5, v71 :: v_dual_add_f32 v113, v113, v0
	v_add_f32_e32 v72, v72, v1
	v_fma_f32 v93, 0x3f116cb1, v77, -v93
	v_mul_f32_e32 v121, 0xbf788fa5, v70
	s_delay_alu instid0(VALU_DEP_4) | instskip(NEXT) | instid1(VALU_DEP_4)
	v_dual_mul_f32 v136, 0xbeb58ec6, v70 :: v_dual_add_f32 v113, v114, v113
	v_add_f32_e32 v67, v69, v72
	v_fma_f32 v72, 0xbf3f9e67, v70, -v89
	v_dual_mul_f32 v135, 0xbf3f9e67, v79 :: v_dual_sub_f32 v100, v68, v100
	v_mul_f32_e32 v141, 0x3f116cb1, v87
	v_mul_f32_e32 v138, 0x3f62ad3f, v87
	s_delay_alu instid0(VALU_DEP_4) | instskip(SKIP_3) | instid1(VALU_DEP_4)
	v_dual_add_f32 v64, v72, v64 :: v_dual_fmac_f32 v137, 0x3f7e222b, v106
	v_mul_f32_e32 v106, 0x3f116cb1, v71
	v_mul_f32_e32 v72, 0xbf788fa5, v79
	v_fma_f32 v111, 0x3df6dbef, v87, -v111
	v_dual_add_f32 v64, v93, v64 :: v_dual_mul_f32 v93, 0x3f62ad3f, v77
	s_delay_alu instid0(VALU_DEP_4) | instskip(SKIP_3) | instid1(VALU_DEP_4)
	v_add_f32_e32 v89, v123, v106
	v_mul_f32_e32 v106, 0x3f62ad3f, v70
	v_add_f32_e32 v72, v120, v72
	v_mul_f32_e32 v120, 0xbf3f9e67, v77
	v_dual_add_f32 v86, v86, v64 :: v_dual_add_f32 v67, v89, v67
	v_mul_f32_e32 v70, 0x3f116cb1, v70
	v_dual_add_f32 v78, v107, v78 :: v_dual_mul_f32 v107, 0xbf788fa5, v87
	v_add_f32_e32 v51, v51, v104
	s_delay_alu instid0(VALU_DEP_4) | instskip(NEXT) | instid1(VALU_DEP_4)
	v_add_f32_e32 v67, v72, v67
	v_dual_mul_f32 v89, 0xbeb58ec6, v77 :: v_dual_sub_f32 v70, v70, v115
	v_mul_f32_e32 v115, 0x3df6dbef, v77
	v_mul_f32_e32 v77, 0xbf788fa5, v77
	;; [unrolled: 1-line block ×3, first 2 shown]
	s_delay_alu instid0(VALU_DEP_4) | instskip(NEXT) | instid1(VALU_DEP_3)
	v_dual_mul_f32 v123, 0xbeb58ec6, v79 :: v_dual_add_f32 v70, v70, v113
	v_dual_mul_f32 v72, 0x3f62ad3f, v79 :: v_dual_sub_f32 v77, v77, v116
	s_delay_alu instid0(VALU_DEP_3) | instskip(SKIP_1) | instid1(VALU_DEP_3)
	v_dual_mul_f32 v69, 0xbeb58ec6, v71 :: v_dual_add_f32 v114, v119, v114
	v_dual_mul_f32 v64, 0x3f62ad3f, v81 :: v_dual_mul_f32 v71, 0x3f62ad3f, v71
	v_dual_mul_f32 v119, 0xbf3f9e67, v81 :: v_dual_add_f32 v70, v77, v70
	s_delay_alu instid0(VALU_DEP_3) | instskip(NEXT) | instid1(VALU_DEP_3)
	v_add_f32_e32 v67, v114, v67
	v_dual_mul_f32 v113, 0xbf3f9e67, v82 :: v_dual_sub_f32 v64, v64, v117
	v_mul_f32_e32 v114, 0x3df6dbef, v82
	v_mul_f32_e32 v77, 0x3f116cb1, v81
	v_dual_mul_f32 v79, 0x3df6dbef, v79 :: v_dual_mul_f32 v116, 0x3df6dbef, v81
	v_dual_mul_f32 v117, 0x3f116cb1, v82 :: v_dual_add_f32 v78, v78, v105
	v_dual_mul_f32 v134, 0xbf788fa5, v88 :: v_dual_add_f32 v71, v108, v71
	v_dual_add_f32 v70, v64, v70 :: v_dual_mul_f32 v105, 0x3f62ad3f, v88
	v_mul_f32_e32 v108, 0xbf3f9e67, v87
	v_mul_f32_e32 v88, 0x3f116cb1, v88
	s_delay_alu instid0(VALU_DEP_4) | instskip(SKIP_4) | instid1(VALU_DEP_4)
	v_dual_add_f32 v68, v118, v67 :: v_dual_add_f32 v71, v71, v78
	v_add_f32_e32 v67, v94, v0
	v_dual_mul_f32 v81, 0xbf788fa5, v81 :: v_dual_mul_f32 v82, 0xbf788fa5, v82
	v_mul_f32_e32 v87, 0xbeb58ec6, v87
	v_dual_add_f32 v78, v101, v79 :: v_dual_sub_f32 v79, v106, v92
	v_dual_add_f32 v67, v100, v67 :: v_dual_add_f32 v64, v137, v109
	s_delay_alu instid0(VALU_DEP_3) | instskip(NEXT) | instid1(VALU_DEP_3)
	v_sub_f32_e32 v87, v87, v112
	v_add_f32_e32 v71, v78, v71
	s_delay_alu instid0(VALU_DEP_3)
	v_dual_add_f32 v78, v102, v82 :: v_dual_add_f32 v67, v79, v67
	v_dual_sub_f32 v48, v142, v48 :: v_dual_sub_f32 v79, v115, v95
	v_add_f32_e32 v45, v51, v45
	v_dual_add_f32 v51, v65, v69 :: v_dual_add_f32 v44, v44, v91
	v_add_f32_e32 v69, v110, v88
	v_dual_sub_f32 v55, v136, v55 :: v_dual_add_f32 v20, v22, v20
	v_add_f32_e32 v65, v78, v71
	v_add_f32_e32 v71, v79, v67
	v_add_f32_e32 v67, v87, v70
	v_dual_sub_f32 v70, v130, v42 :: v_dual_add_f32 v39, v44, v39
	v_add_f32_e32 v44, v50, v122
	v_sub_f32_e32 v50, v77, v75
	s_delay_alu instid0(VALU_DEP_3)
	v_dual_add_f32 v42, v69, v65 :: v_dual_add_f32 v69, v70, v0
	v_dual_sub_f32 v70, v141, v103 :: v_dual_add_f32 v45, v51, v45
	v_add_f32_e32 v51, v84, v72
	v_add_f32_e32 v39, v44, v39
	;; [unrolled: 1-line block ×4, first 2 shown]
	v_sub_f32_e32 v35, v128, v35
	v_add_f32_e32 v22, v31, v127
	v_add_f32_e32 v48, v48, v69
	v_dual_add_f32 v39, v44, v39 :: v_dual_add_f32 v44, v66, v114
	v_add_f32_e32 v45, v51, v45
	v_dual_add_f32 v51, v85, v117 :: v_dual_add_f32 v16, v18, v16
	v_add_f32_e32 v1, v22, v1
	s_delay_alu instid0(VALU_DEP_4) | instskip(NEXT) | instid1(VALU_DEP_3)
	v_add_f32_e32 v39, v44, v39
	v_dual_add_f32 v20, v33, v139 :: v_dual_add_f32 v45, v51, v45
	s_delay_alu instid0(VALU_DEP_4) | instskip(SKIP_1) | instid1(VALU_DEP_2)
	v_dual_add_f32 v51, v90, v133 :: v_dual_add_f32 v12, v12, v16
	v_dual_add_f32 v35, v35, v0 :: v_dual_sub_f32 v16, v76, v34
	v_dual_add_f32 v0, v17, v0 :: v_dual_add_f32 v45, v51, v45
	v_sub_f32_e32 v51, v93, v73
	v_sub_f32_e32 v17, v140, v32
	v_dual_sub_f32 v41, v132, v41 :: v_dual_add_f32 v12, v14, v12
	v_sub_f32_e32 v78, v81, v96
	v_add_f32_e32 v48, v55, v48
	s_delay_alu instid0(VALU_DEP_4) | instskip(SKIP_4) | instid1(VALU_DEP_4)
	v_dual_add_f32 v0, v17, v0 :: v_dual_add_f32 v1, v20, v1
	v_add_f32_e32 v13, v38, v83
	v_add_f32_e32 v35, v41, v35
	v_dual_sub_f32 v41, v121, v47 :: v_dual_add_f32 v8, v8, v12
	v_dual_add_f32 v65, v78, v71 :: v_dual_add_f32 v48, v51, v48
	v_add_f32_e32 v1, v13, v1
	v_dual_add_f32 v13, v43, v123 :: v_dual_add_f32 v0, v16, v0
	v_sub_f32_e32 v9, v89, v40
	v_add_f32_e32 v8, v10, v8
	v_dual_add_f32 v47, v50, v48 :: v_dual_add_f32 v12, v49, v113
	v_add_f32_e32 v35, v41, v35
	v_dual_sub_f32 v41, v120, v56 :: v_dual_and_b32 v10, 0xffff, v99
	v_add_f32_e32 v1, v13, v1
	v_dual_add_f32 v0, v9, v0 :: v_dual_sub_f32 v9, v119, v46
	v_dual_add_f32 v3, v5, v3 :: v_dual_add_f32 v4, v4, v8
	s_delay_alu instid0(VALU_DEP_4) | instskip(NEXT) | instid1(VALU_DEP_4)
	v_dual_add_f32 v35, v41, v35 :: v_dual_sub_f32 v8, v107, v52
	v_add_f32_e32 v1, v12, v1
	v_add_f32_e32 v5, v53, v134
	v_dual_sub_f32 v21, v116, v54 :: v_dual_add_f32 v0, v9, v0
	v_add_f32_e32 v7, v7, v3
	s_delay_alu instid0(VALU_DEP_3) | instskip(SKIP_1) | instid1(VALU_DEP_4)
	v_dual_add_f32 v9, v6, v4 :: v_dual_add_f32 v4, v5, v1
	v_sub_f32_e32 v48, v108, v80
	v_dual_add_f32 v50, v63, v105 :: v_dual_add_f32 v21, v21, v35
	s_delay_alu instid0(VALU_DEP_4) | instskip(SKIP_3) | instid1(VALU_DEP_4)
	v_dual_sub_f32 v23, v138, v57 :: v_dual_add_f32 v6, v25, v7
	v_add_f32_e32 v3, v8, v0
	v_dual_add_f32 v5, v24, v9 :: v_dual_lshlrev_b32 v0, 3, v10
	v_add_f32_e32 v44, v48, v47
	v_dual_add_f32 v2, v50, v39 :: v_dual_add_f32 v1, v23, v21
	v_add_f32_e32 v41, v70, v65
	v_add_f32_e32 v63, v111, v86
	ds_store_2addr_b64 v0, v[5:6], v[3:4] offset1:1
	ds_store_2addr_b64 v0, v[1:2], v[44:45] offset0:2 offset1:3
	ds_store_2addr_b64 v0, v[41:42], v[67:68] offset0:4 offset1:5
	ds_store_2addr_b64 v0, v[63:64], v[124:125] offset0:6 offset1:7
	ds_store_2addr_b64 v0, v[26:27], v[28:29] offset0:8 offset1:9
	ds_store_2addr_b64 v0, v[60:61], v[58:59] offset0:10 offset1:11
	ds_store_b64 v0, v[36:37] offset:96
.LBB0_7:
	s_wait_alu 0xfffe
	s_or_b32 exec_lo, exec_lo, s0
	v_add_nc_u32_e32 v0, 0x1800, v97
	v_add_nc_u32_e32 v1, 0xa00, v97
	;; [unrolled: 1-line block ×3, first 2 shown]
	global_wb scope:SCOPE_SE
	s_wait_dscnt 0x0
	s_barrier_signal -1
	s_barrier_wait -1
	global_inv scope:SCOPE_SE
	ds_load_2addr_b64 v[4:7], v97 offset1:182
	ds_load_2addr_b64 v[12:15], v0 offset0:51 offset1:233
	ds_load_2addr_b64 v[0:3], v1 offset0:44 offset1:226
	;; [unrolled: 1-line block ×3, first 2 shown]
	v_cmp_gt_u16_e64 s0, 0x5b, v98
	s_delay_alu instid0(VALU_DEP_1)
	s_and_saveexec_b32 s1, s0
	s_cbranch_execz .LBB0_9
; %bb.8:
	ds_load_b64 v[26:27], v97 offset:5824
	ds_load_b64 v[28:29], v97 offset:12376
.LBB0_9:
	s_wait_alu 0xfffe
	s_or_b32 exec_lo, exec_lo, s1
	v_and_b32_e32 v16, 0xff, v98
	v_add_co_u32 v64, s1, 0xb6, v98
	s_wait_alu 0xf1ff
	v_add_co_ci_u32_e64 v65, null, 0, 0, s1
	v_add_co_u32 v62, s1, 0x16c, v98
	v_mul_lo_u16 v16, 0x4f, v16
	v_and_b32_e32 v17, 0xffff, v64
	v_add_co_u32 v18, null, 0x222, v98
	s_delay_alu instid0(VALU_DEP_4) | instskip(NEXT) | instid1(VALU_DEP_4)
	v_and_b32_e32 v20, 0xffff, v62
	v_lshrrev_b16 v21, 10, v16
	s_delay_alu instid0(VALU_DEP_4) | instskip(NEXT) | instid1(VALU_DEP_4)
	v_mul_u32_u24_e32 v16, 0x4ec5, v17
	v_and_b32_e32 v22, 0xffff, v18
	v_add_nc_u16 v19, v98, 0x2d8
	v_mul_u32_u24_e32 v17, 0x4ec5, v20
	v_mul_lo_u16 v20, v21, 13
	v_lshrrev_b32_e32 v24, 18, v16
	v_mul_u32_u24_e32 v22, 0x4ec5, v22
	s_wait_alu 0xf1ff
	v_add_co_ci_u32_e64 v63, null, 0, 0, s1
	v_sub_nc_u16 v20, v98, v20
	v_mul_lo_u16 v30, v24, 13
	v_lshrrev_b32_e32 v22, 18, v22
	v_lshrrev_b32_e32 v25, 18, v17
	s_delay_alu instid0(VALU_DEP_4) | instskip(NEXT) | instid1(VALU_DEP_4)
	v_and_b32_e32 v20, 0xff, v20
	v_sub_nc_u16 v30, v64, v30
	s_delay_alu instid0(VALU_DEP_4) | instskip(NEXT) | instid1(VALU_DEP_4)
	v_mul_lo_u16 v32, v22, 13
	v_mul_lo_u16 v31, v25, 13
	s_delay_alu instid0(VALU_DEP_4) | instskip(NEXT) | instid1(VALU_DEP_4)
	v_lshlrev_b32_e32 v34, 3, v20
	v_mad_u16 v24, v24, 26, v30
	s_delay_alu instid0(VALU_DEP_4)
	v_sub_nc_u16 v18, v18, v32
	v_and_b32_e32 v32, 0xffff, v30
	v_sub_nc_u16 v31, v62, v31
	global_load_b64 v[83:84], v34, s[10:11]
	v_lshlrev_b32_e32 v32, 3, v32
	v_mad_u16 v25, v25, 26, v31
	global_load_b64 v[81:82], v32, s[10:11]
	v_and_b32_e32 v23, 0xffff, v19
	v_and_b32_e32 v34, 0xffff, v18
	v_mad_u16 v18, v22, 26, v18
	s_delay_alu instid0(VALU_DEP_2) | instskip(NEXT) | instid1(VALU_DEP_2)
	v_lshlrev_b32_e32 v34, 3, v34
	v_and_b32_e32 v18, 0xffff, v18
	s_delay_alu instid0(VALU_DEP_1) | instskip(SKIP_3) | instid1(VALU_DEP_2)
	v_lshlrev_b32_e32 v102, 3, v18
	s_wait_loadcnt_dscnt 0x102
	v_mul_f32_e32 v22, v12, v84
	v_mul_u32_u24_e32 v23, 0x4ec5, v23
	v_fmac_f32_e32 v22, v13, v83
	s_delay_alu instid0(VALU_DEP_2) | instskip(SKIP_2) | instid1(VALU_DEP_2)
	v_lshrrev_b32_e32 v23, 18, v23
	s_wait_loadcnt 0x0
	v_mul_f32_e32 v18, v14, v82
	v_mul_lo_u16 v33, v23, 13
	s_delay_alu instid0(VALU_DEP_2) | instskip(NEXT) | instid1(VALU_DEP_2)
	v_fmac_f32_e32 v18, v15, v81
	v_sub_nc_u16 v19, v19, v33
	v_and_b32_e32 v33, 0xffff, v31
	s_delay_alu instid0(VALU_DEP_2) | instskip(NEXT) | instid1(VALU_DEP_2)
	v_and_b32_e32 v35, 0xffff, v19
	v_lshlrev_b32_e32 v33, 3, v33
	v_mad_u16 v100, v23, 26, v19
	v_and_b32_e32 v19, 0xffff, v24
	s_delay_alu instid0(VALU_DEP_4)
	v_lshlrev_b32_e32 v32, 3, v35
	s_clause 0x2
	global_load_b64 v[79:80], v33, s[10:11]
	global_load_b64 v[77:78], v34, s[10:11]
	;; [unrolled: 1-line block ×3, first 2 shown]
	v_and_b32_e32 v21, 0xffff, v21
	s_load_b128 s[4:7], s[2:3], 0x0
	global_wb scope:SCOPE_SE
	s_wait_loadcnt_dscnt 0x0
	s_wait_kmcnt 0x0
	s_barrier_signal -1
	s_barrier_wait -1
	v_mul_u32_u24_e32 v21, 26, v21
	global_inv scope:SCOPE_SE
	v_add_lshl_u32 v101, v21, v20, 3
	v_dual_mul_f32 v21, v13, v84 :: v_dual_and_b32 v20, 0xffff, v25
	v_mul_f32_e32 v13, v15, v82
	s_delay_alu instid0(VALU_DEP_2) | instskip(NEXT) | instid1(VALU_DEP_2)
	v_fma_f32 v12, v12, v83, -v21
	v_fma_f32 v13, v14, v81, -v13
	v_mul_f32_e32 v23, v10, v78
	v_mul_f32_e32 v25, v28, v76
	v_dual_mul_f32 v21, v11, v78 :: v_dual_mul_f32 v24, v29, v76
	s_delay_alu instid0(VALU_DEP_3)
	v_fmac_f32_e32 v23, v11, v77
	v_sub_f32_e32 v11, v7, v18
	v_lshlrev_b32_e32 v103, 3, v20
	v_dual_mul_f32 v20, v8, v80 :: v_dual_fmac_f32 v25, v29, v75
	v_dual_mul_f32 v19, v9, v80 :: v_dual_lshlrev_b32 v104, 3, v19
	v_fma_f32 v15, v10, v77, -v21
	s_delay_alu instid0(VALU_DEP_3) | instskip(SKIP_1) | instid1(VALU_DEP_4)
	v_dual_fmac_f32 v20, v9, v79 :: v_dual_sub_f32 v39, v27, v25
	v_sub_f32_e32 v9, v5, v22
	v_fma_f32 v14, v8, v79, -v19
	v_sub_f32_e32 v8, v4, v12
	v_fma_f32 v19, v28, v75, -v24
	v_dual_sub_f32 v10, v6, v13 :: v_dual_sub_f32 v13, v1, v20
	s_delay_alu instid0(VALU_DEP_4)
	v_sub_f32_e32 v12, v0, v14
	v_sub_f32_e32 v14, v2, v15
	;; [unrolled: 1-line block ×3, first 2 shown]
	v_fma_f32 v4, v4, 2.0, -v8
	v_fma_f32 v5, v5, 2.0, -v9
	v_sub_f32_e32 v38, v26, v19
	v_fma_f32 v6, v6, 2.0, -v10
	v_fma_f32 v7, v7, 2.0, -v11
	;; [unrolled: 1-line block ×6, first 2 shown]
	ds_store_2addr_b64 v101, v[4:5], v[8:9] offset1:13
	ds_store_2addr_b64 v104, v[6:7], v[10:11] offset1:13
	;; [unrolled: 1-line block ×4, first 2 shown]
	s_and_saveexec_b32 s1, s0
	s_cbranch_execz .LBB0_11
; %bb.10:
	v_and_b32_e32 v2, 0xffff, v100
	v_fma_f32 v1, v27, 2.0, -v39
	v_fma_f32 v0, v26, 2.0, -v38
	s_delay_alu instid0(VALU_DEP_3)
	v_lshlrev_b32_e32 v2, 3, v2
	ds_store_2addr_b64 v2, v[0:1], v[38:39] offset1:13
.LBB0_11:
	s_wait_alu 0xfffe
	s_or_b32 exec_lo, exec_lo, s1
	v_and_b32_e32 v0, 0xff, v98
	v_lshrrev_b32_e32 v4, 19, v17
	v_lshrrev_b32_e32 v5, 19, v16
	global_wb scope:SCOPE_SE
	s_wait_dscnt 0x0
	s_barrier_signal -1
	v_mul_lo_u16 v0, 0x4f, v0
	v_mul_lo_u16 v1, v4, 26
	s_barrier_wait -1
	global_inv scope:SCOPE_SE
                                        ; implicit-def: $vgpr68
	v_lshrrev_b16 v6, 11, v0
	v_sub_nc_u16 v7, v62, v1
	v_mul_lo_u16 v0, v5, 26
	s_delay_alu instid0(VALU_DEP_3) | instskip(NEXT) | instid1(VALU_DEP_3)
	v_mul_lo_u16 v1, v6, 26
	v_lshlrev_b16 v2, 4, v7
	s_delay_alu instid0(VALU_DEP_3) | instskip(SKIP_1) | instid1(VALU_DEP_4)
	v_sub_nc_u16 v8, v64, v0
	v_mad_u16 v28, 0x4e, v4, v7
	v_sub_nc_u16 v0, v98, v1
	s_delay_alu instid0(VALU_DEP_4) | instskip(NEXT) | instid1(VALU_DEP_4)
	v_and_b32_e32 v1, 0xffff, v2
	v_lshlrev_b16 v2, 4, v8
	v_mad_u16 v27, 0x4e, v5, v8
	s_delay_alu instid0(VALU_DEP_4) | instskip(NEXT) | instid1(VALU_DEP_4)
	v_and_b32_e32 v26, 0xff, v0
	v_add_co_u32 v0, s1, s10, v1
	s_wait_alu 0xf1ff
	v_add_co_ci_u32_e64 v1, null, s11, 0, s1
	v_and_b32_e32 v2, 0xffff, v2
	global_load_b128 v[12:15], v[0:1], off offset:104
	v_lshlrev_b32_e32 v3, 4, v26
	v_add_co_u32 v0, s1, s10, v2
	s_wait_alu 0xf1ff
	v_add_co_ci_u32_e64 v1, null, s11, 0, s1
	s_clause 0x1
	global_load_b128 v[20:23], v3, s[10:11] offset:104
	global_load_b128 v[16:19], v[0:1], off offset:104
	v_add_nc_u32_e32 v0, 0x1600, v97
	v_add_nc_u32_e32 v9, 0xa00, v97
	ds_load_2addr_b64 v[0:3], v0 offset0:24 offset1:206
	ds_load_b64 v[24:25], v97 offset:11648
	ds_load_2addr_b64 v[40:43], v9 offset0:44 offset1:226
	v_add_nc_u32_e32 v10, 0x2000, v97
	v_and_b32_e32 v29, 0xffff, v6
	ds_load_2addr_b64 v[4:7], v10 offset0:68 offset1:250
	ds_load_2addr_b64 v[8:11], v97 offset1:182
	v_and_b32_e32 v27, 0xffff, v27
	v_and_b32_e32 v28, 0xffff, v28
	v_add_nc_u32_e32 v31, 0x1d00, v97
	global_wb scope:SCOPE_SE
	s_wait_loadcnt_dscnt 0x0
	s_barrier_signal -1
	s_barrier_wait -1
	global_inv scope:SCOPE_SE
	v_cmp_gt_u16_e64 s1, 52, v98
	v_mul_f32_e32 v32, v43, v21
	v_mul_f32_e32 v46, v7, v19
	v_mul_u32_u24_e32 v29, 0x4e, v29
	v_mul_f32_e32 v44, v1, v17
	v_dual_mul_f32 v34, v5, v23 :: v_dual_mul_f32 v45, v0, v17
	v_mul_f32_e32 v33, v42, v21
	s_delay_alu instid0(VALU_DEP_4) | instskip(SKIP_3) | instid1(VALU_DEP_3)
	v_add_lshl_u32 v107, v29, v26, 3
	v_mul_f32_e32 v29, v24, v15
	v_dual_mul_f32 v27, v2, v13 :: v_dual_lshlrev_b32 v106, 3, v27
	v_add_nc_u32_e32 v30, 0xe00, v97
	v_dual_mul_f32 v26, v3, v13 :: v_dual_fmac_f32 v29, v25, v14
	v_mul_f32_e32 v35, v4, v23
	s_delay_alu instid0(VALU_DEP_4)
	v_fmac_f32_e32 v27, v3, v12
	v_dual_mul_f32 v28, v25, v15 :: v_dual_lshlrev_b32 v105, 3, v28
	v_mul_f32_e32 v47, v6, v19
	v_fma_f32 v4, v4, v22, -v34
	v_fma_f32 v0, v0, v16, -v44
	;; [unrolled: 1-line block ×6, first 2 shown]
	v_dual_add_f32 v26, v27, v29 :: v_dual_fmac_f32 v35, v5, v22
	v_dual_fmac_f32 v45, v1, v16 :: v_dual_sub_f32 v48, v0, v6
	s_delay_alu instid0(VALU_DEP_4)
	v_dual_fmac_f32 v47, v7, v18 :: v_dual_add_f32 v28, v24, v4
	v_fmac_f32_e32 v33, v43, v20
	v_sub_f32_e32 v25, v27, v29
	v_dual_add_f32 v7, v41, v27 :: v_dual_add_f32 v42, v10, v0
	v_dual_sub_f32 v27, v2, v3 :: v_dual_add_f32 v46, v11, v45
	v_dual_sub_f32 v44, v45, v47 :: v_dual_add_f32 v1, v40, v2
	v_dual_add_f32 v5, v2, v3 :: v_dual_add_f32 v34, v9, v33
	v_add_f32_e32 v2, v8, v24
	v_sub_f32_e32 v32, v33, v35
	v_add_f32_e32 v33, v33, v35
	v_dual_add_f32 v43, v0, v6 :: v_dual_add_f32 v0, v1, v3
	v_dual_add_f32 v45, v45, v47 :: v_dual_add_f32 v6, v42, v6
	v_sub_f32_e32 v24, v24, v4
	v_fma_f32 v40, -0.5, v5, v40
	v_add_f32_e32 v2, v2, v4
	v_fma_f32 v4, -0.5, v28, v8
	v_fma_f32 v5, -0.5, v33, v9
	;; [unrolled: 1-line block ×3, first 2 shown]
	v_fmac_f32_e32 v11, -0.5, v45
	v_fmac_f32_e32 v41, -0.5, v26
	v_dual_add_f32 v3, v34, v35 :: v_dual_fmamk_f32 v8, v32, 0x3f5db3d7, v4
	v_fmamk_f32 v9, v24, 0xbf5db3d7, v5
	v_dual_add_f32 v1, v7, v29 :: v_dual_fmamk_f32 v42, v25, 0x3f5db3d7, v40
	v_dual_add_f32 v7, v46, v47 :: v_dual_fmac_f32 v4, 0xbf5db3d7, v32
	v_fmac_f32_e32 v5, 0x3f5db3d7, v24
	v_fmac_f32_e32 v40, 0xbf5db3d7, v25
	v_fmamk_f32 v24, v44, 0x3f5db3d7, v10
	v_fmamk_f32 v25, v48, 0xbf5db3d7, v11
	v_dual_fmamk_f32 v43, v27, 0xbf5db3d7, v41 :: v_dual_fmac_f32 v10, 0xbf5db3d7, v44
	v_fmac_f32_e32 v11, 0x3f5db3d7, v48
	v_fmac_f32_e32 v41, 0x3f5db3d7, v27
	ds_store_2addr_b64 v107, v[2:3], v[8:9] offset1:26
	ds_store_b64 v107, v[4:5] offset:416
	ds_store_2addr_b64 v106, v[6:7], v[24:25] offset1:26
	ds_store_b64 v106, v[10:11] offset:416
	;; [unrolled: 2-line block ×3, first 2 shown]
	global_wb scope:SCOPE_SE
	s_wait_dscnt 0x0
	s_barrier_signal -1
	s_barrier_wait -1
	global_inv scope:SCOPE_SE
	ds_load_2addr_b64 v[46:49], v97 offset1:234
	ds_load_2addr_b64 v[54:57], v30 offset0:20 offset1:254
	ds_load_2addr_b64 v[50:53], v31 offset0:8 offset1:242
	ds_load_b64 v[66:67], v97 offset:11232
	s_and_saveexec_b32 s2, s1
	s_cbranch_execz .LBB0_13
; %bb.12:
	v_add_nc_u32_e32 v0, 0x1400, v97
	v_add_nc_u32_e32 v1, 0x2280, v97
	;; [unrolled: 1-line block ×3, first 2 shown]
	ds_load_2addr_b64 v[38:41], v0 offset0:10 offset1:244
	ds_load_2addr_b64 v[34:37], v1 offset0:14 offset1:248
	;; [unrolled: 1-line block ×3, first 2 shown]
	ds_load_b64 v[68:69], v97 offset:12688
	s_wait_dscnt 0x2
	v_dual_mov_b32 v60, v40 :: v_dual_mov_b32 v59, v35
	v_dual_mov_b32 v61, v41 :: v_dual_mov_b32 v58, v34
	s_wait_dscnt 0x1
	v_dual_mov_b32 v41, v45 :: v_dual_mov_b32 v40, v44
.LBB0_13:
	s_wait_alu 0xfffe
	s_or_b32 exec_lo, exec_lo, s2
	v_lshrrev_b16 v0, 1, v98
	v_lshrrev_b16 v1, 1, v64
	s_delay_alu instid0(VALU_DEP_2) | instskip(NEXT) | instid1(VALU_DEP_2)
	v_and_b32_e32 v0, 0x7f, v0
	v_and_b32_e32 v1, 0xffff, v1
	s_delay_alu instid0(VALU_DEP_2) | instskip(NEXT) | instid1(VALU_DEP_1)
	v_mul_lo_u16 v0, 0xd3, v0
	v_lshrrev_b16 v44, 13, v0
	s_delay_alu instid0(VALU_DEP_3) | instskip(NEXT) | instid1(VALU_DEP_2)
	v_mul_u32_u24_e32 v0, 0x6907, v1
	v_mul_lo_u16 v1, 0x4e, v44
	s_delay_alu instid0(VALU_DEP_2) | instskip(NEXT) | instid1(VALU_DEP_2)
	v_lshrrev_b32_e32 v0, 20, v0
	v_sub_nc_u16 v1, v98, v1
	s_delay_alu instid0(VALU_DEP_2) | instskip(NEXT) | instid1(VALU_DEP_2)
	v_mul_lo_u16 v0, 0x4e, v0
	v_and_b32_e32 v45, 0xff, v1
	s_delay_alu instid0(VALU_DEP_2) | instskip(NEXT) | instid1(VALU_DEP_2)
	v_sub_nc_u16 v70, v64, v0
	v_mad_co_u64_u32 v[0:1], null, v45, 48, s[10:11]
	s_delay_alu instid0(VALU_DEP_2)
	v_mul_lo_u16 v2, v70, 48
	s_clause 0x1
	global_load_b128 v[32:35], v[0:1], off offset:520
	global_load_b128 v[24:27], v[0:1], off offset:536
	v_and_b32_e32 v2, 0xffff, v2
	v_and_b32_e32 v44, 0xffff, v44
	s_wait_loadcnt_dscnt 0x102
	v_dual_mul_f32 v71, v55, v35 :: v_dual_and_b32 v108, 0xffff, v70
	s_wait_loadcnt 0x0
	v_mul_f32_e32 v85, v56, v25
	v_add_co_u32 v8, s2, s10, v2
	s_wait_alu 0xf1ff
	v_add_co_ci_u32_e64 v9, null, s11, 0, s2
	s_clause 0x3
	global_load_b128 v[28:31], v[0:1], off offset:552
	global_load_b128 v[4:7], v[8:9], off offset:520
	;; [unrolled: 1-line block ×4, first 2 shown]
	v_mul_f32_e32 v73, v57, v25
	v_mul_u32_u24_e32 v44, 0x222, v44
	s_wait_dscnt 0x1
	v_mul_f32_e32 v86, v51, v27
	v_mul_f32_e32 v72, v54, v35
	;; [unrolled: 1-line block ×3, first 2 shown]
	global_wb scope:SCOPE_SE
	s_wait_loadcnt_dscnt 0x0
	v_add_lshl_u32 v109, v44, v45, 3
	v_mul_f32_e32 v44, v49, v33
	v_mul_f32_e32 v45, v48, v33
	v_fma_f32 v50, v50, v26, -v86
	s_barrier_signal -1
	v_add_nc_u32_e32 v70, 0x800, v109
	s_barrier_wait -1
	global_inv scope:SCOPE_SE
	v_fmac_f32_e32 v87, v51, v26
	v_fmac_f32_e32 v45, v49, v32
	v_fma_f32 v49, v56, v24, -v73
	v_fmac_f32_e32 v85, v57, v24
	s_delay_alu instid0(VALU_DEP_2) | instskip(NEXT) | instid1(VALU_DEP_2)
	v_add_f32_e32 v56, v49, v50
	v_add_f32_e32 v57, v85, v87
	v_sub_f32_e32 v49, v50, v49
	v_sub_f32_e32 v50, v87, v85
	v_dual_mul_f32 v88, v53, v29 :: v_dual_mul_f32 v95, v38, v7
	v_dual_mul_f32 v89, v52, v29 :: v_dual_mul_f32 v90, v67, v31
	;; [unrolled: 1-line block ×3, first 2 shown]
	v_mul_f32_e32 v111, v59, v3
	v_dual_mul_f32 v93, v40, v5 :: v_dual_mul_f32 v94, v39, v7
	v_dual_mul_f32 v110, v60, v1 :: v_dual_mul_f32 v115, v69, v11
	;; [unrolled: 1-line block ×3, first 2 shown]
	v_mul_f32_e32 v114, v36, v9
	v_mul_f32_e32 v116, v68, v11
	;; [unrolled: 1-line block ×3, first 2 shown]
	v_fma_f32 v44, v48, v32, -v44
	v_fma_f32 v48, v54, v34, -v71
	v_dual_fmac_f32 v72, v55, v34 :: v_dual_fmac_f32 v89, v53, v28
	v_fma_f32 v51, v52, v28, -v88
	v_fma_f32 v52, v66, v30, -v90
	v_dual_fmac_f32 v91, v67, v30 :: v_dual_fmac_f32 v110, v61, v0
	v_fma_f32 v40, v40, v4, -v92
	v_dual_fmac_f32 v93, v41, v4 :: v_dual_fmac_f32 v112, v59, v2
	;; [unrolled: 2-line block ×3, first 2 shown]
	v_fma_f32 v36, v36, v8, -v113
	v_fma_f32 v37, v68, v10, -v115
	v_dual_fmac_f32 v116, v69, v10 :: v_dual_add_f32 v53, v44, v52
	v_fma_f32 v39, v60, v0, -v96
	v_fma_f32 v41, v58, v2, -v111
	v_dual_add_f32 v54, v45, v91 :: v_dual_add_f32 v55, v72, v89
	v_dual_sub_f32 v44, v44, v52 :: v_dual_sub_f32 v45, v45, v91
	v_add_f32_e32 v52, v48, v51
	v_dual_sub_f32 v48, v48, v51 :: v_dual_add_f32 v59, v93, v116
	v_sub_f32_e32 v51, v72, v89
	v_dual_add_f32 v58, v40, v37 :: v_dual_add_f32 v61, v95, v114
	v_add_f32_e32 v60, v38, v36
	v_sub_f32_e32 v36, v38, v36
	v_dual_sub_f32 v38, v95, v114 :: v_dual_add_f32 v67, v110, v112
	v_dual_sub_f32 v37, v40, v37 :: v_dual_sub_f32 v40, v93, v116
	v_dual_add_f32 v66, v39, v41 :: v_dual_sub_f32 v39, v41, v39
	v_sub_f32_e32 v41, v112, v110
	v_dual_add_f32 v68, v52, v53 :: v_dual_add_f32 v69, v55, v54
	v_dual_sub_f32 v71, v52, v53 :: v_dual_sub_f32 v72, v55, v54
	v_dual_sub_f32 v53, v53, v56 :: v_dual_sub_f32 v54, v54, v57
	;; [unrolled: 1-line block ×3, first 2 shown]
	v_add_f32_e32 v85, v50, v51
	v_dual_add_f32 v73, v49, v48 :: v_dual_add_f32 v88, v60, v58
	v_dual_sub_f32 v86, v49, v48 :: v_dual_sub_f32 v87, v50, v51
	v_dual_add_f32 v89, v61, v59 :: v_dual_sub_f32 v90, v60, v58
	v_dual_sub_f32 v91, v61, v59 :: v_dual_sub_f32 v58, v58, v66
	v_dual_sub_f32 v59, v59, v67 :: v_dual_sub_f32 v60, v66, v60
	;; [unrolled: 1-line block ×5, first 2 shown]
	v_dual_add_f32 v92, v39, v36 :: v_dual_add_f32 v93, v41, v38
	v_dual_sub_f32 v94, v39, v36 :: v_dual_sub_f32 v95, v41, v38
	v_dual_sub_f32 v110, v36, v37 :: v_dual_sub_f32 v111, v38, v40
	v_dual_add_f32 v56, v56, v68 :: v_dual_add_f32 v57, v57, v69
	v_dual_add_f32 v69, v85, v45 :: v_dual_mul_f32 v38, 0x3f4a47b2, v54
	v_dual_mul_f32 v36, 0x3f4a47b2, v53 :: v_dual_mul_f32 v59, 0x3f4a47b2, v59
	v_mul_f32_e32 v39, 0x3d64c772, v52
	v_dual_mul_f32 v53, 0x3d64c772, v55 :: v_dual_add_f32 v66, v66, v88
	v_dual_mul_f32 v54, 0xbf08b237, v86 :: v_dual_add_f32 v67, v67, v89
	v_dual_sub_f32 v41, v40, v41 :: v_dual_add_f32 v68, v73, v44
	v_mul_f32_e32 v73, 0xbf08b237, v87
	v_dual_mul_f32 v85, 0x3f5ff5aa, v48 :: v_dual_mul_f32 v86, 0x3f5ff5aa, v51
	v_dual_add_f32 v87, v92, v37 :: v_dual_mul_f32 v58, 0x3f4a47b2, v58
	v_add_f32_e32 v40, v93, v40
	v_dual_mul_f32 v88, 0x3d64c772, v60 :: v_dual_mul_f32 v89, 0x3d64c772, v61
	v_dual_mul_f32 v92, 0xbf08b237, v94 :: v_dual_mul_f32 v93, 0xbf08b237, v95
	;; [unrolled: 1-line block ×3, first 2 shown]
	v_dual_add_f32 v44, v46, v56 :: v_dual_add_f32 v45, v47, v57
	v_fmamk_f32 v46, v52, 0x3d64c772, v36
	v_fmamk_f32 v47, v55, 0x3d64c772, v38
	v_fma_f32 v52, 0x3f3bfb3b, v71, -v39
	v_fma_f32 v53, 0x3f3bfb3b, v72, -v53
	;; [unrolled: 1-line block ×3, first 2 shown]
	v_add_f32_e32 v36, v42, v66
	v_fma_f32 v71, 0xbf3bfb3b, v72, -v38
	v_dual_fmamk_f32 v72, v49, 0x3eae86e6, v54 :: v_dual_add_f32 v37, v43, v67
	v_fmamk_f32 v112, v50, 0x3eae86e6, v73
	v_fma_f32 v54, 0x3f5ff5aa, v48, -v54
	v_fma_f32 v51, 0x3f5ff5aa, v51, -v73
	v_fma_f32 v73, 0xbeae86e6, v49, -v85
	v_fma_f32 v85, 0xbeae86e6, v50, -v86
	v_dual_fmamk_f32 v42, v60, 0x3d64c772, v58 :: v_dual_fmamk_f32 v43, v61, 0x3d64c772, v59
	v_fma_f32 v48, 0x3f3bfb3b, v90, -v88
	v_fma_f32 v49, 0x3f3bfb3b, v91, -v89
	v_fma_f32 v50, 0xbf3bfb3b, v90, -v58
	v_fma_f32 v58, 0xbf3bfb3b, v91, -v59
	v_dual_fmamk_f32 v38, v96, 0x3eae86e6, v92 :: v_dual_fmamk_f32 v39, v41, 0x3eae86e6, v93
	;; [unrolled: 5-line block ×3, first 2 shown]
	v_fmamk_f32 v57, v66, 0xbf955555, v36
	v_fmamk_f32 v59, v67, 0xbf955555, v37
	v_dual_fmac_f32 v72, 0x3ee1c552, v68 :: v_dual_fmac_f32 v51, 0x3ee1c552, v69
	v_dual_fmac_f32 v54, 0x3ee1c552, v68 :: v_dual_fmac_f32 v85, 0x3ee1c552, v69
	;; [unrolled: 1-line block ×4, first 2 shown]
	v_add_f32_e32 v53, v53, v56
	v_dual_fmac_f32 v88, 0x3ee1c552, v40 :: v_dual_fmac_f32 v89, 0x3ee1c552, v87
	v_dual_fmac_f32 v90, 0x3ee1c552, v40 :: v_dual_add_f32 v55, v55, v41
	v_dual_add_f32 v60, v46, v41 :: v_dual_add_f32 v61, v47, v56
	v_fmac_f32_e32 v112, 0x3ee1c552, v69
	v_add_f32_e32 v52, v52, v41
	v_dual_add_f32 v56, v71, v56 :: v_dual_add_f32 v67, v49, v59
	v_dual_add_f32 v40, v42, v57 :: v_dual_add_f32 v41, v43, v59
	v_dual_add_f32 v66, v48, v57 :: v_dual_add_f32 v69, v58, v59
	v_dual_add_f32 v68, v50, v57 :: v_dual_sub_f32 v43, v61, v72
	v_dual_add_f32 v42, v112, v60 :: v_dual_add_f32 v49, v54, v53
	v_dual_add_f32 v46, v85, v55 :: v_dual_sub_f32 v47, v56, v73
	v_sub_f32_e32 v48, v52, v51
	v_dual_add_f32 v50, v51, v52 :: v_dual_add_f32 v61, v72, v61
	v_dual_sub_f32 v51, v53, v54 :: v_dual_sub_f32 v58, v55, v85
	v_add_f32_e32 v59, v73, v56
	v_dual_sub_f32 v60, v60, v112 :: v_dual_sub_f32 v53, v69, v89
	v_dual_add_f32 v52, v90, v68 :: v_dual_sub_f32 v57, v67, v86
	v_dual_sub_f32 v54, v66, v88 :: v_dual_sub_f32 v91, v68, v90
	v_dual_add_f32 v55, v86, v67 :: v_dual_add_f32 v56, v88, v66
	v_dual_add_f32 v92, v89, v69 :: v_dual_sub_f32 v85, v40, v39
	v_add_f32_e32 v86, v38, v41
	ds_store_2addr_b64 v109, v[44:45], v[42:43] offset1:78
	ds_store_2addr_b64 v109, v[46:47], v[48:49] offset0:156 offset1:234
	ds_store_2addr_b64 v70, v[50:51], v[58:59] offset0:56 offset1:134
	ds_store_b64 v109, v[60:61] offset:3744
	s_and_saveexec_b32 s2, s1
	s_cbranch_execz .LBB0_15
; %bb.14:
	v_dual_sub_f32 v41, v41, v38 :: v_dual_lshlrev_b32 v42, 3, v108
	s_delay_alu instid0(VALU_DEP_1)
	v_dual_add_f32 v40, v39, v40 :: v_dual_add_nc_u32 v39, 0x2400, v42
	v_add_nc_u32_e32 v38, 0x2000, v42
	v_add_nc_u32_e32 v43, 0x2800, v42
	ds_store_2addr_b64 v38, v[36:37], v[40:41] offset0:68 offset1:146
	ds_store_2addr_b64 v39, v[52:53], v[54:55] offset0:96 offset1:174
	;; [unrolled: 1-line block ×3, first 2 shown]
	ds_store_b64 v42, v[85:86] offset:12480
.LBB0_15:
	s_wait_alu 0xfffe
	s_or_b32 exec_lo, exec_lo, s2
	v_lshlrev_b64_e32 v[40:41], 4, v[64:65]
	v_lshlrev_b64_e32 v[42:43], 4, v[62:63]
	v_lshlrev_b32_e32 v36, 4, v98
	global_wb scope:SCOPE_SE
	s_wait_dscnt 0x0
	s_barrier_signal -1
	s_barrier_wait -1
	v_add_co_u32 v40, s2, s10, v40
	s_wait_alu 0xf1ff
	v_add_co_ci_u32_e64 v41, s2, s11, v41, s2
	global_inv scope:SCOPE_SE
	global_load_b128 v[36:39], v36, s[10:11] offset:4264
	v_add_co_u32 v42, s2, s10, v42
	s_wait_alu 0xf1ff
	v_add_co_ci_u32_e64 v43, s2, s11, v43, s2
	s_clause 0x1
	global_load_b128 v[44:47], v[40:41], off offset:4264
	global_load_b128 v[40:43], v[42:43], off offset:4264
	v_add_nc_u32_e32 v88, 0xa00, v97
	v_add_nc_u32_e32 v87, 0x2000, v97
	ds_load_2addr_b64 v[48:51], v88 offset0:44 offset1:226
	ds_load_2addr_b64 v[58:61], v87 offset0:68 offset1:250
	v_add_nc_u32_e32 v89, 0x1600, v97
	s_wait_loadcnt_dscnt 0x200
	v_dual_mul_f32 v73, v50, v37 :: v_dual_mul_f32 v90, v59, v39
	v_dual_mul_f32 v72, v51, v37 :: v_dual_mul_f32 v93, v58, v39
	s_delay_alu instid0(VALU_DEP_2) | instskip(NEXT) | instid1(VALU_DEP_3)
	v_fmac_f32_e32 v73, v51, v36
	v_fma_f32 v51, v58, v38, -v90
	s_wait_loadcnt 0x1
	v_mul_f32_e32 v90, v60, v47
	ds_load_2addr_b64 v[66:69], v89 offset0:24 offset1:206
	ds_load_b64 v[70:71], v97 offset:11648
	ds_load_2addr_b64 v[62:65], v97 offset1:182
	v_fmac_f32_e32 v93, v59, v38
	v_mul_f32_e32 v59, v61, v47
	v_fma_f32 v50, v50, v36, -v72
	s_delay_alu instid0(VALU_DEP_2)
	v_fma_f32 v116, v60, v46, -v59
	s_wait_loadcnt_dscnt 0x2
	v_mul_f32_e32 v94, v69, v41
	s_wait_dscnt 0x0
	v_dual_mul_f32 v58, v67, v45 :: v_dual_add_f32 v111, v62, v50
	v_mul_f32_e32 v72, v66, v45
	v_dual_mul_f32 v95, v68, v41 :: v_dual_mul_f32 v96, v71, v43
	v_dual_mul_f32 v110, v70, v43 :: v_dual_sub_f32 v113, v73, v93
	s_delay_alu instid0(VALU_DEP_2) | instskip(SKIP_2) | instid1(VALU_DEP_3)
	v_dual_add_f32 v114, v63, v73 :: v_dual_fmac_f32 v95, v69, v40
	v_dual_add_f32 v112, v50, v51 :: v_dual_add_f32 v73, v73, v93
	v_fma_f32 v115, v66, v44, -v58
	v_dual_fmac_f32 v72, v67, v44 :: v_dual_add_f32 v59, v114, v93
	v_fmac_f32_e32 v90, v61, v46
	v_fma_f32 v60, v68, v40, -v94
	v_fma_f32 v70, v70, v42, -v96
	s_delay_alu instid0(VALU_DEP_4)
	v_dual_fmac_f32 v110, v71, v42 :: v_dual_add_f32 v69, v65, v72
	v_sub_f32_e32 v50, v50, v51
	v_add_f32_e32 v58, v111, v51
	v_fma_f32 v66, -0.5, v112, v62
	v_fma_f32 v67, -0.5, v73, v63
	v_add_f32_e32 v51, v64, v115
	v_dual_add_f32 v71, v72, v90 :: v_dual_add_f32 v62, v115, v116
	v_add_f32_e32 v93, v60, v70
	v_dual_add_f32 v73, v48, v60 :: v_dual_sub_f32 v94, v95, v110
	v_dual_add_f32 v96, v49, v95 :: v_dual_add_f32 v95, v95, v110
	v_dual_sub_f32 v63, v72, v90 :: v_dual_sub_f32 v72, v115, v116
	v_sub_f32_e32 v111, v60, v70
	v_fma_f32 v64, -0.5, v62, v64
	v_dual_fmac_f32 v65, -0.5, v71 :: v_dual_add_f32 v70, v73, v70
	v_fma_f32 v48, -0.5, v93, v48
	v_dual_fmac_f32 v49, -0.5, v95 :: v_dual_fmamk_f32 v60, v113, 0x3f5db3d7, v66
	v_dual_fmac_f32 v66, 0xbf5db3d7, v113 :: v_dual_fmamk_f32 v61, v50, 0xbf5db3d7, v67
	v_dual_fmac_f32 v67, 0x3f5db3d7, v50 :: v_dual_add_f32 v68, v51, v116
	v_add_f32_e32 v69, v69, v90
	v_dual_add_f32 v71, v96, v110 :: v_dual_fmamk_f32 v62, v63, 0x3f5db3d7, v64
	v_dual_fmac_f32 v64, 0xbf5db3d7, v63 :: v_dual_fmamk_f32 v63, v72, 0xbf5db3d7, v65
	v_dual_fmac_f32 v65, 0x3f5db3d7, v72 :: v_dual_fmamk_f32 v72, v94, 0x3f5db3d7, v48
	;; [unrolled: 1-line block ×3, first 2 shown]
	v_fmac_f32_e32 v49, 0x3f5db3d7, v111
	ds_store_2addr_b64 v97, v[58:59], v[68:69] offset1:182
	ds_store_2addr_b64 v88, v[70:71], v[60:61] offset0:44 offset1:226
	ds_store_2addr_b64 v87, v[66:67], v[64:65] offset0:68 offset1:250
	;; [unrolled: 1-line block ×3, first 2 shown]
	ds_store_b64 v97, v[48:49] offset:11648
	global_wb scope:SCOPE_SE
	s_wait_dscnt 0x0
	s_barrier_signal -1
	s_barrier_wait -1
	global_inv scope:SCOPE_SE
	s_and_saveexec_b32 s10, vcc_lo
	s_cbranch_execz .LBB0_17
; %bb.16:
	global_load_b64 v[50:51], v97, s[8:9] offset:13104
	s_add_nc_u64 s[2:3], s[8:9], 0x3330
	s_clause 0xb
	global_load_b64 v[88:89], v97, s[2:3] offset:1008
	global_load_b64 v[130:131], v97, s[2:3] offset:2016
	;; [unrolled: 1-line block ×12, first 2 shown]
	ds_load_b64 v[93:94], v97
	s_wait_loadcnt_dscnt 0xc00
	v_dual_mul_f32 v90, v94, v51 :: v_dual_add_nc_u32 v153, 0x1800, v97
	v_mul_f32_e32 v96, v93, v51
	s_delay_alu instid0(VALU_DEP_2) | instskip(NEXT) | instid1(VALU_DEP_2)
	v_fma_f32 v95, v93, v50, -v90
	v_fmac_f32_e32 v96, v94, v50
	ds_store_b64 v97, v[95:96]
	ds_load_2addr_b64 v[93:96], v97 offset0:126 offset1:252
	v_add_nc_u32_e32 v90, 0x800, v97
	s_wait_loadcnt_dscnt 0xa00
	v_dual_mul_f32 v155, v96, v131 :: v_dual_add_nc_u32 v152, 0x1000, v97
	ds_load_2addr_b64 v[110:113], v90 offset0:122 offset1:248
	v_add_nc_u32_e32 v154, 0x2800, v97
	v_mul_f32_e32 v50, v94, v89
	v_mul_f32_e32 v51, v93, v89
	;; [unrolled: 1-line block ×3, first 2 shown]
	ds_load_2addr_b64 v[114:117], v152 offset0:118 offset1:244
	ds_load_2addr_b64 v[118:121], v153 offset0:114 offset1:240
	v_fmac_f32_e32 v51, v94, v88
	v_fmac_f32_e32 v89, v96, v130
	s_wait_loadcnt_dscnt 0x802
	v_mul_f32_e32 v157, v113, v135
	ds_load_2addr_b64 v[122:125], v87 offset0:110 offset1:236
	ds_load_2addr_b64 v[126:129], v154 offset0:106 offset1:232
	v_mul_f32_e32 v156, v111, v133
	v_mul_f32_e32 v131, v110, v133
	s_wait_loadcnt_dscnt 0x603
	v_mul_f32_e32 v159, v117, v139
	v_dual_mul_f32 v133, v112, v135 :: v_dual_mul_f32 v158, v115, v137
	v_mul_f32_e32 v135, v114, v137
	s_wait_loadcnt_dscnt 0x502
	v_dual_mul_f32 v137, v116, v139 :: v_dual_mul_f32 v160, v119, v141
	s_wait_loadcnt 0x4
	v_mul_f32_e32 v161, v121, v143
	v_mul_f32_e32 v139, v118, v141
	;; [unrolled: 1-line block ×3, first 2 shown]
	v_fma_f32 v50, v93, v88, -v50
	v_fma_f32 v88, v95, v130, -v155
	;; [unrolled: 1-line block ×3, first 2 shown]
	v_fmac_f32_e32 v131, v111, v132
	v_fma_f32 v132, v112, v134, -v157
	v_fmac_f32_e32 v133, v113, v134
	v_fma_f32 v134, v114, v136, -v158
	s_wait_loadcnt_dscnt 0x301
	v_mul_f32_e32 v162, v123, v145
	v_mul_f32_e32 v143, v122, v145
	s_wait_loadcnt_dscnt 0x100
	v_dual_mul_f32 v163, v125, v147 :: v_dual_mul_f32 v164, v127, v149
	v_mul_f32_e32 v145, v124, v147
	v_mul_f32_e32 v147, v126, v149
	s_wait_loadcnt 0x0
	v_mul_f32_e32 v165, v129, v151
	v_mul_f32_e32 v149, v128, v151
	v_fmac_f32_e32 v135, v115, v136
	v_fma_f32 v136, v116, v138, -v159
	v_fmac_f32_e32 v137, v117, v138
	v_fma_f32 v138, v118, v140, -v160
	;; [unrolled: 2-line block ×7, first 2 shown]
	v_fmac_f32_e32 v149, v129, v150
	ds_store_2addr_b64 v97, v[50:51], v[88:89] offset0:126 offset1:252
	ds_store_2addr_b64 v90, v[130:131], v[132:133] offset0:122 offset1:248
	;; [unrolled: 1-line block ×6, first 2 shown]
.LBB0_17:
	s_wait_alu 0xfffe
	s_or_b32 exec_lo, exec_lo, s10
	global_wb scope:SCOPE_SE
	s_wait_dscnt 0x0
	s_barrier_signal -1
	s_barrier_wait -1
	global_inv scope:SCOPE_SE
	s_and_saveexec_b32 s2, vcc_lo
	s_cbranch_execz .LBB0_19
; %bb.18:
	v_add_nc_u32_e32 v48, 0x1c00, v97
	v_add_nc_u32_e32 v54, 0xc00, v97
	;; [unrolled: 1-line block ×3, first 2 shown]
	ds_load_2addr_b64 v[58:61], v97 offset1:126
	ds_load_2addr_b64 v[50:53], v48 offset0:112 offset1:238
	v_add_nc_u32_e32 v49, 0x400, v97
	v_add_nc_u32_e32 v48, 0x2400, v97
	ds_load_b64 v[91:92], v97 offset:12096
	ds_load_2addr_b64 v[66:69], v49 offset0:124 offset1:250
	ds_load_2addr_b64 v[62:65], v54 offset0:120 offset1:246
	;; [unrolled: 1-line block ×4, first 2 shown]
	s_wait_dscnt 0x5
	v_dual_mov_b32 v48, v50 :: v_dual_mov_b32 v49, v51
.LBB0_19:
	s_wait_alu 0xfffe
	s_or_b32 exec_lo, exec_lo, s2
	s_wait_dscnt 0x4
	v_dual_sub_f32 v135, v61, v92 :: v_dual_add_f32 v146, v92, v61
	v_add_f32_e32 v133, v91, v60
	v_sub_f32_e32 v139, v60, v91
	s_wait_dscnt 0x0
	v_add_f32_e32 v110, v57, v67
	v_dual_mul_f32 v156, 0xbf6f5d39, v135 :: v_dual_add_f32 v111, v56, v66
	v_mul_f32_e32 v136, 0xbeedf032, v135
	v_mul_f32_e32 v140, 0x3f62ad3f, v146
	;; [unrolled: 1-line block ×3, first 2 shown]
	s_delay_alu instid0(VALU_DEP_4)
	v_fma_f32 v93, 0xbeb58ec6, v133, -v156
	v_mul_f32_e32 v150, 0xbf7e222b, v135
	v_fma_f32 v50, 0x3f62ad3f, v133, -v136
	v_fmamk_f32 v51, v139, 0xbeedf032, v140
	v_dual_mul_f32 v157, 0xbeb58ec6, v146 :: v_dual_sub_f32 v112, v67, v57
	v_add_f32_e32 v93, v58, v93
	v_fma_f32 v89, 0x3df6dbef, v133, -v150
	v_mul_f32_e32 v144, 0xbf52af12, v135
	v_add_f32_e32 v50, v58, v50
	v_dual_mul_f32 v152, 0x3df6dbef, v146 :: v_dual_add_f32 v51, v59, v51
	s_delay_alu instid0(VALU_DEP_4) | instskip(NEXT) | instid1(VALU_DEP_4)
	v_add_f32_e32 v89, v58, v89
	v_fma_f32 v87, 0x3f116cb1, v133, -v144
	v_mul_f32_e32 v162, 0xbf29c268, v135
	v_mul_f32_e32 v167, 0xbf3f9e67, v146
	v_fmamk_f32 v88, v139, 0xbf52af12, v145
	v_dual_fmamk_f32 v90, v139, 0xbf7e222b, v152 :: v_dual_sub_f32 v113, v66, v56
	v_add_f32_e32 v87, v58, v87
	v_fma_f32 v95, 0xbf3f9e67, v133, -v162
	v_fmamk_f32 v94, v139, 0xbf6f5d39, v157
	v_fmamk_f32 v96, v139, 0xbf29c268, v167
	v_mul_f32_e32 v153, 0x3f116cb1, v110
	v_dual_add_f32 v90, v59, v90 :: v_dual_mul_f32 v151, 0xbf52af12, v112
	s_delay_alu instid0(VALU_DEP_3) | instskip(NEXT) | instid1(VALU_DEP_3)
	v_dual_add_f32 v95, v58, v95 :: v_dual_add_f32 v96, v59, v96
	v_dual_add_f32 v94, v59, v94 :: v_dual_fmamk_f32 v115, v113, 0xbf52af12, v153
	v_mul_f32_e32 v124, 0xbf6f5d39, v112
	s_delay_alu instid0(VALU_DEP_4) | instskip(SKIP_1) | instid1(VALU_DEP_4)
	v_fma_f32 v114, 0x3f116cb1, v111, -v151
	v_mul_f32_e32 v143, 0xbf788fa5, v110
	v_dual_mul_f32 v118, 0x3f29c268, v112 :: v_dual_add_f32 v51, v115, v51
	s_delay_alu instid0(VALU_DEP_4) | instskip(SKIP_3) | instid1(VALU_DEP_4)
	v_fma_f32 v116, 0xbeb58ec6, v111, -v124
	v_add_f32_e32 v88, v59, v88
	v_dual_add_f32 v50, v114, v50 :: v_dual_mul_f32 v137, 0xbe750f2a, v112
	v_mul_f32_e32 v129, 0xbeb58ec6, v110
	v_dual_add_f32 v87, v116, v87 :: v_dual_fmamk_f32 v116, v113, 0xbe750f2a, v143
	v_fma_f32 v117, 0xbf3f9e67, v111, -v118
	v_mul_f32_e32 v119, 0xbf3f9e67, v110
	s_delay_alu instid0(VALU_DEP_4) | instskip(SKIP_4) | instid1(VALU_DEP_4)
	v_fmamk_f32 v114, v113, 0xbf6f5d39, v129
	v_fma_f32 v115, 0xbf788fa5, v111, -v137
	v_mul_f32_e32 v123, 0x3f7e222b, v112
	v_add_f32_e32 v93, v117, v93
	v_sub_f32_e32 v117, v68, v54
	v_dual_add_f32 v90, v116, v90 :: v_dual_add_f32 v89, v115, v89
	v_dual_add_f32 v115, v55, v69 :: v_dual_add_f32 v88, v114, v88
	v_fma_f32 v120, 0x3df6dbef, v111, -v123
	v_fmamk_f32 v114, v113, 0x3f29c268, v119
	v_sub_f32_e32 v116, v69, v55
	s_delay_alu instid0(VALU_DEP_4) | instskip(SKIP_1) | instid1(VALU_DEP_4)
	v_mul_f32_e32 v171, 0x3df6dbef, v115
	v_mul_f32_e32 v164, 0xbeb58ec6, v115
	v_dual_add_f32 v95, v120, v95 :: v_dual_add_f32 v94, v114, v94
	v_add_f32_e32 v114, v54, v68
	s_delay_alu instid0(VALU_DEP_4) | instskip(SKIP_3) | instid1(VALU_DEP_4)
	v_fmamk_f32 v122, v117, 0xbf7e222b, v171
	v_mul_f32_e32 v170, 0xbf7e222b, v116
	v_mul_f32_e32 v128, 0x3f62ad3f, v115
	;; [unrolled: 1-line block ×3, first 2 shown]
	v_dual_mul_f32 v134, 0xbf52af12, v116 :: v_dual_add_f32 v51, v122, v51
	s_delay_alu instid0(VALU_DEP_4)
	v_fma_f32 v121, 0x3df6dbef, v114, -v170
	v_mul_f32_e32 v141, 0xbe750f2a, v116
	v_fmamk_f32 v126, v117, 0x3eedf032, v128
	v_mul_f32_e32 v148, 0xbf788fa5, v115
	v_mul_f32_e32 v160, 0x3f6f5d39, v116
	v_add_f32_e32 v50, v121, v50
	v_fma_f32 v125, 0xbf788fa5, v114, -v141
	v_dual_fmamk_f32 v121, v117, 0x3f6f5d39, v164 :: v_dual_add_f32 v94, v126, v94
	v_sub_f32_e32 v126, v62, v52
	s_delay_alu instid0(VALU_DEP_3) | instskip(NEXT) | instid1(VALU_DEP_3)
	v_dual_sub_f32 v138, v64, v48 :: v_dual_add_f32 v87, v125, v87
	v_dual_mul_f32 v125, 0x3eedf032, v116 :: v_dual_add_f32 v90, v121, v90
	v_add_f32_e32 v121, v53, v63
	global_wb scope:SCOPE_SE
	s_barrier_signal -1
	v_fma_f32 v122, 0x3f62ad3f, v114, -v125
	v_fmamk_f32 v120, v113, 0x3f7e222b, v127
	v_mul_f32_e32 v181, 0xbeb58ec6, v121
	v_mul_f32_e32 v168, 0xbf3f9e67, v121
	;; [unrolled: 1-line block ×3, first 2 shown]
	s_delay_alu instid0(VALU_DEP_4) | instskip(NEXT) | instid1(VALU_DEP_4)
	v_dual_add_f32 v93, v122, v93 :: v_dual_add_f32 v96, v120, v96
	v_fmamk_f32 v132, v126, 0xbf6f5d39, v181
	v_fmamk_f32 v120, v117, 0xbe750f2a, v148
	v_sub_f32_e32 v122, v63, v53
	v_mul_f32_e32 v176, 0x3f62ad3f, v121
	v_mul_f32_e32 v147, 0x3df6dbef, v121
	v_add_f32_e32 v51, v132, v51
	v_add_f32_e32 v88, v120, v88
	v_fma_f32 v120, 0xbeb58ec6, v114, -v160
	v_fmamk_f32 v130, v117, 0xbf52af12, v149
	s_barrier_wait -1
	global_inv scope:SCOPE_SE
	v_sub_f32_e32 v161, v70, v72
	v_add_f32_e32 v89, v120, v89
	v_fma_f32 v120, 0x3f116cb1, v114, -v134
	s_delay_alu instid0(VALU_DEP_1) | instskip(SKIP_2) | instid1(VALU_DEP_1)
	v_dual_add_f32 v96, v130, v96 :: v_dual_add_f32 v95, v120, v95
	v_add_f32_e32 v120, v52, v62
	v_mul_f32_e32 v180, 0xbf6f5d39, v122
	v_fma_f32 v131, 0xbeb58ec6, v120, -v180
	s_delay_alu instid0(VALU_DEP_1) | instskip(NEXT) | instid1(VALU_DEP_1)
	v_dual_add_f32 v50, v131, v50 :: v_dual_fmamk_f32 v131, v126, 0x3f29c268, v168
	v_dual_mul_f32 v163, 0x3f29c268, v122 :: v_dual_add_f32 v88, v131, v88
	s_delay_alu instid0(VALU_DEP_1) | instskip(SKIP_1) | instid1(VALU_DEP_2)
	v_fma_f32 v130, 0xbf3f9e67, v120, -v163
	v_fmamk_f32 v131, v126, 0x3eedf032, v176
	v_dual_add_f32 v87, v130, v87 :: v_dual_mul_f32 v172, 0x3eedf032, v122
	s_delay_alu instid0(VALU_DEP_2) | instskip(NEXT) | instid1(VALU_DEP_2)
	v_add_f32_e32 v90, v131, v90
	v_fma_f32 v130, 0x3f62ad3f, v120, -v172
	s_delay_alu instid0(VALU_DEP_1) | instskip(SKIP_1) | instid1(VALU_DEP_2)
	v_dual_add_f32 v89, v130, v89 :: v_dual_mul_f32 v142, 0xbf7e222b, v122
	v_fmamk_f32 v130, v126, 0xbf7e222b, v147
	v_fma_f32 v132, 0x3df6dbef, v120, -v142
	s_delay_alu instid0(VALU_DEP_1) | instskip(SKIP_2) | instid1(VALU_DEP_2)
	v_add_f32_e32 v93, v132, v93
	v_sub_f32_e32 v132, v65, v49
	v_mul_f32_e32 v158, 0x3e750f2a, v122
	v_dual_add_f32 v94, v130, v94 :: v_dual_mul_f32 v165, 0x3e750f2a, v132
	s_delay_alu instid0(VALU_DEP_2) | instskip(NEXT) | instid1(VALU_DEP_1)
	v_fma_f32 v131, 0xbf788fa5, v120, -v158
	v_dual_mul_f32 v182, 0xbf52af12, v132 :: v_dual_add_f32 v95, v131, v95
	v_add_f32_e32 v131, v49, v65
	s_delay_alu instid0(VALU_DEP_1) | instskip(SKIP_4) | instid1(VALU_DEP_4)
	v_dual_mul_f32 v166, 0xbf788fa5, v121 :: v_dual_mul_f32 v169, 0xbf788fa5, v131
	v_dual_mul_f32 v189, 0xbf3f9e67, v131 :: v_dual_add_f32 v130, v48, v64
	v_mul_f32_e32 v186, 0x3f116cb1, v131
	v_mul_f32_e32 v175, 0x3f62ad3f, v131
	;; [unrolled: 1-line block ×3, first 2 shown]
	v_fmamk_f32 v155, v138, 0xbf29c268, v189
	s_delay_alu instid0(VALU_DEP_1) | instskip(SKIP_1) | instid1(VALU_DEP_1)
	v_add_f32_e32 v51, v155, v51
	v_fma_f32 v155, 0x3f116cb1, v130, -v182
	v_add_f32_e32 v177, v155, v89
	v_fmamk_f32 v89, v138, 0xbf52af12, v186
	v_mul_f32_e32 v173, 0x3eedf032, v132
	v_fmamk_f32 v155, v138, 0x3e750f2a, v169
	v_mul_f32_e32 v188, 0xbf29c268, v132
	s_delay_alu instid0(VALU_DEP_2) | instskip(SKIP_3) | instid1(VALU_DEP_4)
	v_dual_add_f32 v94, v155, v94 :: v_dual_add_f32 v155, v73, v71
	v_add_f32_e32 v194, v89, v90
	v_fma_f32 v89, 0x3f62ad3f, v130, -v173
	v_fmamk_f32 v154, v126, 0x3e750f2a, v166
	v_mul_f32_e32 v193, 0xbf788fa5, v155
	v_mul_f32_e32 v187, 0x3f62ad3f, v155
	s_delay_alu instid0(VALU_DEP_3) | instskip(SKIP_4) | instid1(VALU_DEP_4)
	v_dual_add_f32 v195, v89, v95 :: v_dual_add_f32 v96, v154, v96
	v_fmamk_f32 v90, v138, 0x3eedf032, v175
	v_fma_f32 v154, 0xbf3f9e67, v130, -v188
	v_mul_f32_e32 v191, 0xbf3f9e67, v155
	v_mul_f32_e32 v184, 0xbeb58ec6, v155
	v_add_f32_e32 v196, v90, v96
	v_fmamk_f32 v90, v161, 0xbe750f2a, v193
	v_mul_f32_e32 v174, 0x3f7e222b, v132
	v_fmamk_f32 v96, v161, 0x3eedf032, v187
	s_delay_alu instid0(VALU_DEP_3) | instskip(NEXT) | instid1(VALU_DEP_3)
	v_dual_fmamk_f32 v198, v161, 0xbf6f5d39, v184 :: v_dual_add_f32 v51, v90, v51
	v_fma_f32 v159, 0x3df6dbef, v130, -v174
	s_delay_alu instid0(VALU_DEP_1) | instskip(SKIP_2) | instid1(VALU_DEP_2)
	v_add_f32_e32 v87, v159, v87
	v_dual_sub_f32 v159, v71, v73 :: v_dual_add_f32 v50, v154, v50
	v_fmamk_f32 v154, v138, 0x3f7e222b, v179
	v_mul_f32_e32 v192, 0xbe750f2a, v159
	s_delay_alu instid0(VALU_DEP_2) | instskip(SKIP_2) | instid1(VALU_DEP_3)
	v_dual_mul_f32 v185, 0x3eedf032, v159 :: v_dual_add_f32 v88, v154, v88
	v_fma_f32 v154, 0xbf788fa5, v130, -v165
	v_mul_f32_e32 v190, 0xbf29c268, v159
	v_dual_mul_f32 v183, 0xbf6f5d39, v159 :: v_dual_add_f32 v90, v96, v88
	s_delay_alu instid0(VALU_DEP_3) | instskip(SKIP_1) | instid1(VALU_DEP_2)
	v_dual_add_f32 v93, v154, v93 :: v_dual_add_f32 v154, v72, v70
	v_fmamk_f32 v88, v161, 0xbf29c268, v191
	v_fma_f32 v89, 0xbf788fa5, v154, -v192
	v_fma_f32 v95, 0x3f62ad3f, v154, -v185
	v_fma_f32 v178, 0xbf3f9e67, v154, -v190
	v_fma_f32 v197, 0xbeb58ec6, v154, -v183
	v_add_f32_e32 v88, v88, v194
	s_delay_alu instid0(VALU_DEP_4) | instskip(NEXT) | instid1(VALU_DEP_4)
	v_dual_add_f32 v50, v89, v50 :: v_dual_add_f32 v89, v95, v87
	v_add_f32_e32 v87, v178, v177
	v_mul_f32_e32 v177, 0x3f52af12, v159
	v_mul_f32_e32 v178, 0x3f116cb1, v155
	s_delay_alu instid0(VALU_DEP_2) | instskip(NEXT) | instid1(VALU_DEP_1)
	v_fma_f32 v95, 0x3f116cb1, v154, -v177
	v_dual_fmamk_f32 v96, v161, 0x3f52af12, v178 :: v_dual_add_f32 v95, v95, v93
	s_delay_alu instid0(VALU_DEP_1)
	v_dual_add_f32 v96, v96, v94 :: v_dual_add_f32 v93, v197, v195
	v_add_f32_e32 v94, v198, v196
	s_and_saveexec_b32 s2, vcc_lo
	s_cbranch_execz .LBB0_21
; %bb.20:
	v_dual_add_f32 v61, v61, v59 :: v_dual_add_f32 v60, v60, v58
	s_delay_alu instid0(VALU_DEP_1) | instskip(SKIP_1) | instid1(VALU_DEP_2)
	v_dual_add_f32 v61, v67, v61 :: v_dual_add_f32 v60, v66, v60
	v_mul_f32_e32 v67, 0x3f62ad3f, v133
	v_dual_add_f32 v61, v69, v61 :: v_dual_add_f32 v60, v68, v60
	s_delay_alu instid0(VALU_DEP_2) | instskip(NEXT) | instid1(VALU_DEP_2)
	v_add_f32_e32 v67, v67, v136
	v_dual_add_f32 v61, v63, v61 :: v_dual_add_f32 v60, v62, v60
	s_delay_alu instid0(VALU_DEP_1) | instskip(NEXT) | instid1(VALU_DEP_2)
	v_dual_mul_f32 v62, 0xbf52af12, v139 :: v_dual_add_f32 v61, v65, v61
	v_add_f32_e32 v60, v64, v60
	v_mul_f32_e32 v64, 0xbeedf032, v139
	s_delay_alu instid0(VALU_DEP_3) | instskip(NEXT) | instid1(VALU_DEP_3)
	v_dual_mul_f32 v63, 0x3f116cb1, v133 :: v_dual_sub_f32 v62, v145, v62
	v_dual_add_f32 v61, v71, v61 :: v_dual_add_f32 v60, v70, v60
	s_delay_alu instid0(VALU_DEP_3) | instskip(NEXT) | instid1(VALU_DEP_3)
	v_sub_f32_e32 v64, v140, v64
	v_add_f32_e32 v63, v63, v144
	s_delay_alu instid0(VALU_DEP_3) | instskip(NEXT) | instid1(VALU_DEP_1)
	v_dual_add_f32 v61, v73, v61 :: v_dual_add_f32 v60, v72, v60
	v_dual_add_f32 v49, v49, v61 :: v_dual_add_f32 v48, v48, v60
	v_mul_f32_e32 v60, 0xbf7e222b, v139
	v_mul_f32_e32 v61, 0x3df6dbef, v133
	s_delay_alu instid0(VALU_DEP_3) | instskip(NEXT) | instid1(VALU_DEP_2)
	v_dual_add_f32 v49, v53, v49 :: v_dual_add_f32 v48, v52, v48
	v_dual_sub_f32 v60, v152, v60 :: v_dual_add_f32 v61, v61, v150
	s_delay_alu instid0(VALU_DEP_2) | instskip(NEXT) | instid1(VALU_DEP_1)
	v_dual_add_f32 v49, v55, v49 :: v_dual_add_f32 v48, v54, v48
	v_dual_add_f32 v49, v57, v49 :: v_dual_add_f32 v48, v56, v48
	v_mul_f32_e32 v56, 0xbf6f5d39, v139
	v_mul_f32_e32 v55, 0xbf3f9e67, v133
	;; [unrolled: 1-line block ×4, first 2 shown]
	v_add_f32_e32 v48, v91, v48
	v_sub_f32_e32 v56, v157, v56
	v_dual_mul_f32 v52, 0xbe750f2a, v139 :: v_dual_add_f32 v55, v55, v162
	s_delay_alu instid0(VALU_DEP_4) | instskip(NEXT) | instid1(VALU_DEP_2)
	v_dual_add_f32 v57, v57, v156 :: v_dual_sub_f32 v54, v167, v54
	v_dual_add_f32 v72, v59, v56 :: v_dual_fmamk_f32 v53, v146, 0xbf788fa5, v52
	v_mul_f32_e32 v65, 0xbe750f2a, v135
	v_fma_f32 v52, 0xbf788fa5, v146, -v52
	v_add_f32_e32 v71, v58, v55
	v_dual_add_f32 v73, v58, v57 :: v_dual_add_f32 v56, v59, v62
	v_add_f32_e32 v68, v59, v53
	v_fma_f32 v66, 0xbf788fa5, v133, -v65
	v_fmac_f32_e32 v65, 0xbf788fa5, v133
	v_add_f32_e32 v55, v58, v61
	v_add_f32_e32 v57, v58, v63
	;; [unrolled: 1-line block ×5, first 2 shown]
	v_dual_mul_f32 v58, 0xbf52af12, v113 :: v_dual_add_f32 v69, v59, v52
	v_add_f32_e32 v70, v59, v54
	v_add_f32_e32 v54, v59, v60
	v_dual_add_f32 v52, v59, v64 :: v_dual_add_f32 v49, v92, v49
	s_delay_alu instid0(VALU_DEP_4) | instskip(SKIP_1) | instid1(VALU_DEP_2)
	v_dual_sub_f32 v58, v153, v58 :: v_dual_mul_f32 v59, 0x3f116cb1, v111
	v_mul_f32_e32 v61, 0xbf29c268, v116
	v_dual_mul_f32 v67, 0x3f7e222b, v161 :: v_dual_add_f32 v52, v58, v52
	s_delay_alu instid0(VALU_DEP_3) | instskip(NEXT) | instid1(VALU_DEP_3)
	v_dual_add_f32 v59, v59, v151 :: v_dual_mul_f32 v58, 0xbf7e222b, v117
	v_fma_f32 v62, 0xbf3f9e67, v114, -v61
	v_fmac_f32_e32 v61, 0xbf3f9e67, v114
	s_delay_alu instid0(VALU_DEP_3) | instskip(NEXT) | instid1(VALU_DEP_4)
	v_sub_f32_e32 v58, v171, v58
	v_add_f32_e32 v53, v59, v53
	v_mul_f32_e32 v59, 0x3df6dbef, v114
	s_delay_alu instid0(VALU_DEP_1) | instskip(NEXT) | instid1(VALU_DEP_1)
	v_add_f32_e32 v59, v59, v170
	v_add_f32_e32 v53, v59, v53
	v_mul_f32_e32 v59, 0xbeb58ec6, v120
	v_add_f32_e32 v52, v58, v52
	s_delay_alu instid0(VALU_DEP_2) | instskip(NEXT) | instid1(VALU_DEP_1)
	v_dual_mul_f32 v58, 0xbf6f5d39, v126 :: v_dual_add_f32 v59, v59, v180
	v_dual_sub_f32 v58, v181, v58 :: v_dual_add_f32 v53, v59, v53
	s_delay_alu instid0(VALU_DEP_1) | instskip(NEXT) | instid1(VALU_DEP_1)
	v_dual_mul_f32 v59, 0xbf3f9e67, v130 :: v_dual_add_f32 v52, v58, v52
	v_dual_mul_f32 v58, 0xbf29c268, v138 :: v_dual_add_f32 v59, v59, v188
	s_delay_alu instid0(VALU_DEP_1) | instskip(NEXT) | instid1(VALU_DEP_1)
	v_dual_sub_f32 v58, v189, v58 :: v_dual_add_f32 v59, v59, v53
	v_dual_mul_f32 v53, 0xbf788fa5, v154 :: v_dual_add_f32 v52, v58, v52
	v_mul_f32_e32 v58, 0xbe750f2a, v161
	s_delay_alu instid0(VALU_DEP_2) | instskip(NEXT) | instid1(VALU_DEP_2)
	v_add_f32_e32 v60, v53, v192
	v_sub_f32_e32 v58, v193, v58
	s_delay_alu instid0(VALU_DEP_1) | instskip(NEXT) | instid1(VALU_DEP_3)
	v_dual_add_f32 v53, v58, v52 :: v_dual_mul_f32 v58, 0xbe750f2a, v113
	v_add_f32_e32 v52, v60, v59
	s_delay_alu instid0(VALU_DEP_2) | instskip(NEXT) | instid1(VALU_DEP_1)
	v_dual_mul_f32 v59, 0xbf788fa5, v111 :: v_dual_sub_f32 v58, v143, v58
	v_dual_add_f32 v59, v59, v137 :: v_dual_add_f32 v54, v58, v54
	s_delay_alu instid0(VALU_DEP_1) | instskip(SKIP_1) | instid1(VALU_DEP_1)
	v_add_f32_e32 v55, v59, v55
	v_mul_f32_e32 v59, 0xbf52af12, v138
	v_dual_mul_f32 v58, 0x3f6f5d39, v117 :: v_dual_sub_f32 v59, v186, v59
	s_delay_alu instid0(VALU_DEP_1) | instskip(NEXT) | instid1(VALU_DEP_1)
	v_sub_f32_e32 v58, v164, v58
	v_add_f32_e32 v54, v58, v54
	v_mul_f32_e32 v58, 0x3eedf032, v126
	s_delay_alu instid0(VALU_DEP_1) | instskip(NEXT) | instid1(VALU_DEP_1)
	v_sub_f32_e32 v58, v176, v58
	v_add_f32_e32 v54, v58, v54
	v_mul_f32_e32 v58, 0xbeb58ec6, v114
	s_delay_alu instid0(VALU_DEP_1) | instskip(NEXT) | instid1(VALU_DEP_1)
	v_add_f32_e32 v58, v58, v160
	v_dual_add_f32 v55, v58, v55 :: v_dual_mul_f32 v58, 0x3f62ad3f, v120
	s_delay_alu instid0(VALU_DEP_1) | instskip(SKIP_1) | instid1(VALU_DEP_2)
	v_add_f32_e32 v58, v58, v172
	v_dual_add_f32 v54, v59, v54 :: v_dual_mul_f32 v59, 0xbf29c268, v161
	v_dual_add_f32 v55, v58, v55 :: v_dual_mul_f32 v58, 0x3f116cb1, v130
	s_delay_alu instid0(VALU_DEP_1) | instskip(NEXT) | instid1(VALU_DEP_1)
	v_dual_sub_f32 v59, v191, v59 :: v_dual_add_f32 v58, v58, v182
	v_dual_add_f32 v58, v58, v55 :: v_dual_mul_f32 v55, 0xbf3f9e67, v154
	s_delay_alu instid0(VALU_DEP_1) | instskip(NEXT) | instid1(VALU_DEP_3)
	v_add_f32_e32 v60, v55, v190
	v_add_f32_e32 v55, v59, v54
	v_mul_f32_e32 v59, 0xbeb58ec6, v111
	s_delay_alu instid0(VALU_DEP_1) | instskip(NEXT) | instid1(VALU_DEP_1)
	v_add_f32_e32 v59, v59, v124
	v_add_f32_e32 v57, v59, v57
	v_mul_f32_e32 v59, 0xbf788fa5, v114
	s_delay_alu instid0(VALU_DEP_1) | instskip(NEXT) | instid1(VALU_DEP_1)
	;; [unrolled: 4-line block ×3, first 2 shown]
	v_add_f32_e32 v59, v59, v163
	v_add_f32_e32 v57, v59, v57
	v_dual_mul_f32 v59, 0x3eedf032, v161 :: v_dual_add_f32 v54, v60, v58
	s_delay_alu instid0(VALU_DEP_1) | instskip(NEXT) | instid1(VALU_DEP_1)
	v_dual_sub_f32 v59, v187, v59 :: v_dual_mul_f32 v58, 0xbf6f5d39, v113
	v_sub_f32_e32 v58, v129, v58
	s_delay_alu instid0(VALU_DEP_1) | instskip(SKIP_1) | instid1(VALU_DEP_1)
	v_add_f32_e32 v56, v58, v56
	v_mul_f32_e32 v58, 0xbe750f2a, v117
	v_sub_f32_e32 v58, v148, v58
	s_delay_alu instid0(VALU_DEP_1) | instskip(SKIP_1) | instid1(VALU_DEP_1)
	v_add_f32_e32 v56, v58, v56
	v_mul_f32_e32 v58, 0x3f29c268, v126
	v_sub_f32_e32 v58, v168, v58
	s_delay_alu instid0(VALU_DEP_1) | instskip(SKIP_1) | instid1(VALU_DEP_1)
	v_add_f32_e32 v56, v58, v56
	v_mul_f32_e32 v58, 0x3f7e222b, v138
	v_sub_f32_e32 v58, v179, v58
	s_delay_alu instid0(VALU_DEP_1) | instskip(SKIP_1) | instid1(VALU_DEP_1)
	v_add_f32_e32 v56, v58, v56
	v_mul_f32_e32 v58, 0x3df6dbef, v130
	v_add_f32_e32 v58, v58, v174
	s_delay_alu instid0(VALU_DEP_1) | instskip(NEXT) | instid1(VALU_DEP_1)
	v_dual_add_f32 v58, v58, v57 :: v_dual_mul_f32 v57, 0x3f62ad3f, v154
	v_dual_add_f32 v60, v57, v185 :: v_dual_add_f32 v57, v59, v56
	v_mul_f32_e32 v59, 0x3f52af12, v126
	s_delay_alu instid0(VALU_DEP_2) | instskip(SKIP_2) | instid1(VALU_DEP_2)
	v_add_f32_e32 v56, v60, v58
	v_and_b32_e32 v58, 0xffff, v99
	v_mul_f32_e32 v60, 0x3eedf032, v112
	v_lshlrev_b32_e32 v58, 3, v58
	ds_store_2addr_b64 v58, v[48:49], v[52:53] offset1:1
	ds_store_2addr_b64 v58, v[56:57], v[54:55] offset0:2 offset1:3
	v_mul_f32_e32 v48, 0x3f7e222b, v113
	v_mul_f32_e32 v49, 0xbf52af12, v117
	;; [unrolled: 1-line block ×4, first 2 shown]
	s_delay_alu instid0(VALU_DEP_4) | instskip(NEXT) | instid1(VALU_DEP_3)
	v_dual_mul_f32 v55, 0x3f62ad3f, v114 :: v_dual_sub_f32 v48, v127, v48
	v_dual_sub_f32 v49, v149, v49 :: v_dual_add_f32 v52, v52, v123
	s_delay_alu instid0(VALU_DEP_3) | instskip(NEXT) | instid1(VALU_DEP_3)
	v_add_f32_e32 v53, v53, v134
	v_dual_add_f32 v55, v55, v125 :: v_dual_add_f32 v48, v48, v70
	s_delay_alu instid0(VALU_DEP_3) | instskip(NEXT) | instid1(VALU_DEP_2)
	v_dual_mul_f32 v57, 0xbf29c268, v117 :: v_dual_add_f32 v52, v52, v71
	v_dual_add_f32 v48, v49, v48 :: v_dual_mul_f32 v49, 0x3e750f2a, v126
	s_delay_alu instid0(VALU_DEP_2) | instskip(SKIP_1) | instid1(VALU_DEP_3)
	v_add_f32_e32 v52, v53, v52
	v_mul_f32_e32 v53, 0xbf788fa5, v120
	v_sub_f32_e32 v49, v166, v49
	s_delay_alu instid0(VALU_DEP_2) | instskip(NEXT) | instid1(VALU_DEP_2)
	v_add_f32_e32 v53, v53, v158
	v_dual_add_f32 v48, v49, v48 :: v_dual_mul_f32 v49, 0x3eedf032, v138
	s_delay_alu instid0(VALU_DEP_1) | instskip(NEXT) | instid1(VALU_DEP_1)
	v_sub_f32_e32 v49, v175, v49
	v_add_f32_e32 v48, v49, v48
	s_delay_alu instid0(VALU_DEP_4) | instskip(SKIP_1) | instid1(VALU_DEP_2)
	v_dual_add_f32 v49, v53, v52 :: v_dual_mul_f32 v52, 0x3f62ad3f, v130
	v_mul_f32_e32 v53, 0xbf6f5d39, v161
	v_add_f32_e32 v52, v52, v173
	s_delay_alu instid0(VALU_DEP_2) | instskip(NEXT) | instid1(VALU_DEP_2)
	v_sub_f32_e32 v53, v184, v53
	v_dual_add_f32 v52, v52, v49 :: v_dual_mul_f32 v49, 0xbeb58ec6, v154
	s_delay_alu instid0(VALU_DEP_1) | instskip(NEXT) | instid1(VALU_DEP_3)
	v_add_f32_e32 v54, v49, v183
	v_add_f32_e32 v49, v53, v48
	s_delay_alu instid0(VALU_DEP_2) | instskip(SKIP_1) | instid1(VALU_DEP_1)
	v_dual_mul_f32 v53, 0x3eedf032, v117 :: v_dual_add_f32 v48, v54, v52
	v_mul_f32_e32 v52, 0x3f29c268, v113
	v_dual_sub_f32 v53, v128, v53 :: v_dual_sub_f32 v52, v119, v52
	s_delay_alu instid0(VALU_DEP_1) | instskip(NEXT) | instid1(VALU_DEP_1)
	v_add_f32_e32 v52, v52, v72
	v_dual_add_f32 v52, v53, v52 :: v_dual_mul_f32 v53, 0xbf7e222b, v126
	s_delay_alu instid0(VALU_DEP_1) | instskip(NEXT) | instid1(VALU_DEP_1)
	v_sub_f32_e32 v53, v147, v53
	v_dual_add_f32 v52, v53, v52 :: v_dual_mul_f32 v53, 0x3e750f2a, v138
	s_delay_alu instid0(VALU_DEP_1) | instskip(NEXT) | instid1(VALU_DEP_1)
	v_sub_f32_e32 v53, v169, v53
	v_add_f32_e32 v52, v53, v52
	v_mul_f32_e32 v54, 0xbf3f9e67, v111
	s_delay_alu instid0(VALU_DEP_1) | instskip(NEXT) | instid1(VALU_DEP_1)
	v_add_f32_e32 v54, v54, v118
	v_add_f32_e32 v54, v54, v73
	s_delay_alu instid0(VALU_DEP_1) | instskip(NEXT) | instid1(VALU_DEP_1)
	v_dual_add_f32 v54, v55, v54 :: v_dual_mul_f32 v55, 0x3df6dbef, v120
	v_add_f32_e32 v55, v55, v142
	s_delay_alu instid0(VALU_DEP_1) | instskip(SKIP_2) | instid1(VALU_DEP_2)
	v_add_f32_e32 v53, v55, v54
	v_mul_f32_e32 v54, 0xbf788fa5, v130
	v_mul_f32_e32 v55, 0x3f52af12, v161
	v_add_f32_e32 v54, v54, v165
	s_delay_alu instid0(VALU_DEP_2) | instskip(NEXT) | instid1(VALU_DEP_2)
	v_sub_f32_e32 v55, v178, v55
	v_dual_add_f32 v54, v54, v53 :: v_dual_mul_f32 v53, 0x3f116cb1, v154
	s_delay_alu instid0(VALU_DEP_1) | instskip(SKIP_2) | instid1(VALU_DEP_3)
	v_dual_add_f32 v56, v53, v177 :: v_dual_add_f32 v53, v55, v52
	v_fmamk_f32 v55, v115, 0xbf3f9e67, v57
	v_fma_f32 v57, 0xbf3f9e67, v115, -v57
	v_add_f32_e32 v52, v56, v54
	v_mul_f32_e32 v56, 0x3eedf032, v113
	s_delay_alu instid0(VALU_DEP_1) | instskip(SKIP_1) | instid1(VALU_DEP_2)
	v_fmamk_f32 v54, v110, 0x3f62ad3f, v56
	v_fma_f32 v56, 0x3f62ad3f, v110, -v56
	v_add_f32_e32 v54, v54, v68
	s_delay_alu instid0(VALU_DEP_2) | instskip(SKIP_1) | instid1(VALU_DEP_3)
	v_add_f32_e32 v56, v56, v69
	v_mul_f32_e32 v68, 0x3f7e222b, v159
	v_dual_add_f32 v54, v55, v54 :: v_dual_fmamk_f32 v55, v121, 0x3f116cb1, v59
	s_delay_alu instid0(VALU_DEP_3) | instskip(SKIP_1) | instid1(VALU_DEP_3)
	v_add_f32_e32 v56, v57, v56
	v_fma_f32 v57, 0x3f116cb1, v121, -v59
	v_add_f32_e32 v54, v55, v54
	v_fma_f32 v55, 0x3f62ad3f, v111, -v60
	v_fmac_f32_e32 v60, 0x3f62ad3f, v111
	s_delay_alu instid0(VALU_DEP_2) | instskip(NEXT) | instid1(VALU_DEP_1)
	v_dual_add_f32 v56, v57, v56 :: v_dual_add_f32 v55, v55, v66
	v_dual_add_f32 v60, v60, v65 :: v_dual_add_f32 v55, v62, v55
	s_delay_alu instid0(VALU_DEP_1) | instskip(NEXT) | instid1(VALU_DEP_1)
	v_dual_mul_f32 v62, 0x3f52af12, v122 :: v_dual_add_f32 v59, v61, v60
	v_fma_f32 v63, 0x3f116cb1, v120, -v62
	s_delay_alu instid0(VALU_DEP_1) | instskip(SKIP_1) | instid1(VALU_DEP_1)
	v_dual_fmac_f32 v62, 0x3f116cb1, v120 :: v_dual_add_f32 v55, v63, v55
	v_mul_f32_e32 v63, 0xbf6f5d39, v138
	v_dual_add_f32 v59, v62, v59 :: v_dual_fmamk_f32 v64, v131, 0xbeb58ec6, v63
	v_fma_f32 v57, 0xbeb58ec6, v131, -v63
	s_delay_alu instid0(VALU_DEP_2) | instskip(SKIP_1) | instid1(VALU_DEP_3)
	v_add_f32_e32 v54, v64, v54
	v_mul_f32_e32 v64, 0xbf6f5d39, v132
	v_add_f32_e32 v56, v57, v56
	v_fma_f32 v57, 0x3df6dbef, v155, -v67
	s_delay_alu instid0(VALU_DEP_3) | instskip(NEXT) | instid1(VALU_DEP_2)
	v_fma_f32 v66, 0xbeb58ec6, v130, -v64
	v_dual_fmac_f32 v64, 0xbeb58ec6, v130 :: v_dual_add_f32 v57, v57, v56
	s_delay_alu instid0(VALU_DEP_2) | instskip(NEXT) | instid1(VALU_DEP_2)
	v_dual_add_f32 v66, v66, v55 :: v_dual_fmamk_f32 v55, v155, 0x3df6dbef, v67
	v_add_f32_e32 v59, v64, v59
	s_delay_alu instid0(VALU_DEP_2) | instskip(SKIP_2) | instid1(VALU_DEP_2)
	v_add_f32_e32 v55, v55, v54
	v_fma_f32 v54, 0x3df6dbef, v154, -v68
	v_fmac_f32_e32 v68, 0x3df6dbef, v154
	v_add_f32_e32 v54, v54, v66
	s_delay_alu instid0(VALU_DEP_2)
	v_add_f32_e32 v56, v68, v59
	ds_store_2addr_b64 v58, v[52:53], v[48:49] offset0:4 offset1:5
	ds_store_2addr_b64 v58, v[56:57], v[54:55] offset0:6 offset1:7
	ds_store_2addr_b64 v58, v[93:94], v[95:96] offset0:8 offset1:9
	ds_store_2addr_b64 v58, v[87:88], v[89:90] offset0:10 offset1:11
	ds_store_b64 v58, v[50:51] offset:96
.LBB0_21:
	s_wait_alu 0xfffe
	s_or_b32 exec_lo, exec_lo, s2
	v_add_nc_u32_e32 v48, 0x1800, v97
	v_add_nc_u32_e32 v49, 0xa00, v97
	v_add_nc_u32_e32 v60, 0x2400, v97
	global_wb scope:SCOPE_SE
	s_wait_dscnt 0x0
	s_barrier_signal -1
	s_barrier_wait -1
	global_inv scope:SCOPE_SE
	ds_load_2addr_b64 v[56:59], v97 offset1:182
	ds_load_2addr_b64 v[64:67], v48 offset0:51 offset1:233
	ds_load_2addr_b64 v[52:55], v49 offset0:44 offset1:226
	;; [unrolled: 1-line block ×3, first 2 shown]
	s_and_saveexec_b32 s2, s0
	s_cbranch_execz .LBB0_23
; %bb.22:
	ds_load_b64 v[93:94], v97 offset:5824
	ds_load_b64 v[95:96], v97 offset:12376
.LBB0_23:
	s_wait_alu 0xfffe
	s_or_b32 exec_lo, exec_lo, s2
	s_wait_dscnt 0x2
	v_dual_mul_f32 v48, v84, v65 :: v_dual_mul_f32 v69, v82, v66
	v_dual_mul_f32 v49, v84, v64 :: v_dual_mul_f32 v68, v82, v67
	global_wb scope:SCOPE_SE
	s_wait_dscnt 0x0
	v_fmac_f32_e32 v48, v83, v64
	v_fma_f32 v67, v81, v67, -v69
	v_mul_f32_e32 v69, v78, v62
	v_fma_f32 v49, v83, v65, -v49
	v_dual_fmac_f32 v68, v81, v66 :: v_dual_mul_f32 v65, v80, v60
	v_mul_f32_e32 v64, v80, v61
	s_delay_alu instid0(VALU_DEP_3) | instskip(SKIP_1) | instid1(VALU_DEP_4)
	v_dual_mul_f32 v66, v78, v63 :: v_dual_sub_f32 v49, v57, v49
	v_fma_f32 v69, v77, v63, -v69
	v_fma_f32 v65, v79, v61, -v65
	s_delay_alu instid0(VALU_DEP_4)
	v_dual_fmac_f32 v64, v79, v60 :: v_dual_mul_f32 v61, v76, v95
	v_mul_f32_e32 v70, v76, v96
	v_fmac_f32_e32 v66, v77, v62
	v_sub_f32_e32 v48, v56, v48
	v_sub_f32_e32 v60, v58, v68
	v_fma_f32 v68, v75, v96, -v61
	v_dual_sub_f32 v62, v52, v64 :: v_dual_sub_f32 v63, v53, v65
	v_sub_f32_e32 v65, v55, v69
	v_fmac_f32_e32 v70, v75, v95
	v_dual_sub_f32 v61, v59, v67 :: v_dual_sub_f32 v64, v54, v66
	v_fma_f32 v56, v56, 2.0, -v48
	v_fma_f32 v57, v57, 2.0, -v49
	;; [unrolled: 1-line block ×4, first 2 shown]
	v_dual_sub_f32 v53, v94, v68 :: v_dual_sub_f32 v52, v93, v70
	v_fma_f32 v58, v58, 2.0, -v60
	v_fma_f32 v59, v59, 2.0, -v61
	v_fma_f32 v54, v54, 2.0, -v64
	v_fma_f32 v55, v55, 2.0, -v65
	s_barrier_signal -1
	s_barrier_wait -1
	global_inv scope:SCOPE_SE
	ds_store_2addr_b64 v101, v[56:57], v[48:49] offset1:13
	ds_store_2addr_b64 v104, v[58:59], v[60:61] offset1:13
	;; [unrolled: 1-line block ×4, first 2 shown]
	s_and_saveexec_b32 s2, s0
	s_cbranch_execz .LBB0_25
; %bb.24:
	v_and_b32_e32 v54, 0xffff, v100
	v_fma_f32 v49, v94, 2.0, -v53
	v_fma_f32 v48, v93, 2.0, -v52
	s_delay_alu instid0(VALU_DEP_3)
	v_lshlrev_b32_e32 v54, 3, v54
	ds_store_2addr_b64 v54, v[48:49], v[52:53] offset1:13
.LBB0_25:
	s_wait_alu 0xfffe
	s_or_b32 exec_lo, exec_lo, s2
	global_wb scope:SCOPE_SE
	s_wait_dscnt 0x0
	s_barrier_signal -1
	s_barrier_wait -1
	global_inv scope:SCOPE_SE
	ds_load_b64 v[48:49], v97 offset:11648
	v_add_nc_u32_e32 v54, 0xa00, v97
	v_add_nc_u32_e32 v58, 0x2000, v97
	;; [unrolled: 1-line block ×3, first 2 shown]
	s_wait_dscnt 0x0
	v_mul_f32_e32 v70, v15, v49
	v_mul_f32_e32 v15, v15, v48
	ds_load_2addr_b64 v[54:57], v54 offset0:44 offset1:226
	ds_load_2addr_b64 v[58:61], v58 offset0:68 offset1:250
	;; [unrolled: 1-line block ×3, first 2 shown]
	ds_load_2addr_b64 v[66:69], v97 offset1:182
	global_wb scope:SCOPE_SE
	s_wait_dscnt 0x0
	s_barrier_signal -1
	s_barrier_wait -1
	v_fma_f32 v49, v14, v49, -v15
	global_inv scope:SCOPE_SE
	v_dual_mul_f32 v71, v21, v57 :: v_dual_mul_f32 v72, v23, v59
	v_mul_f32_e32 v21, v21, v56
	v_mul_f32_e32 v23, v23, v58
	;; [unrolled: 1-line block ×3, first 2 shown]
	s_delay_alu instid0(VALU_DEP_4)
	v_dual_mul_f32 v75, v19, v61 :: v_dual_fmac_f32 v72, v22, v58
	v_fmac_f32_e32 v71, v20, v56
	v_dual_mul_f32 v17, v17, v62 :: v_dual_fmac_f32 v70, v14, v48
	v_dual_mul_f32 v19, v19, v60 :: v_dual_mul_f32 v76, v13, v65
	v_fma_f32 v15, v20, v57, -v21
	v_fma_f32 v20, v22, v59, -v23
	v_dual_fmac_f32 v73, v16, v62 :: v_dual_add_f32 v14, v71, v72
	v_fma_f32 v21, v16, v63, -v17
	v_fmac_f32_e32 v75, v18, v60
	v_fma_f32 v23, v18, v61, -v19
	v_sub_f32_e32 v17, v15, v20
	v_add_f32_e32 v18, v15, v20
	v_fma_f32 v14, -0.5, v14, v66
	v_mul_f32_e32 v13, v13, v64
	v_add_f32_e32 v19, v67, v15
	s_delay_alu instid0(VALU_DEP_4) | instskip(NEXT) | instid1(VALU_DEP_4)
	v_fma_f32 v15, -0.5, v18, v67
	v_fmamk_f32 v18, v17, 0xbf5db3d7, v14
	v_fmac_f32_e32 v76, v12, v64
	v_fmac_f32_e32 v14, 0x3f5db3d7, v17
	v_fma_f32 v12, v12, v65, -v13
	v_dual_add_f32 v13, v66, v71 :: v_dual_sub_f32 v22, v71, v72
	s_delay_alu instid0(VALU_DEP_4) | instskip(NEXT) | instid1(VALU_DEP_3)
	v_add_f32_e32 v56, v54, v76
	v_dual_sub_f32 v58, v76, v70 :: v_dual_add_f32 v57, v55, v12
	s_delay_alu instid0(VALU_DEP_3) | instskip(SKIP_3) | instid1(VALU_DEP_3)
	v_add_f32_e32 v16, v13, v72
	v_dual_add_f32 v17, v19, v20 :: v_dual_add_f32 v20, v68, v73
	v_add_f32_e32 v13, v73, v75
	v_sub_f32_e32 v48, v73, v75
	v_add_f32_e32 v20, v20, v75
	s_delay_alu instid0(VALU_DEP_3) | instskip(SKIP_4) | instid1(VALU_DEP_2)
	v_fma_f32 v68, -0.5, v13, v68
	v_sub_f32_e32 v13, v21, v23
	v_fmamk_f32 v19, v22, 0x3f5db3d7, v15
	v_dual_fmac_f32 v15, 0xbf5db3d7, v22 :: v_dual_add_f32 v22, v21, v23
	v_add_f32_e32 v21, v69, v21
	v_dual_fmac_f32 v69, -0.5, v22 :: v_dual_fmamk_f32 v22, v13, 0xbf5db3d7, v68
	v_dual_fmac_f32 v68, 0x3f5db3d7, v13 :: v_dual_add_f32 v13, v76, v70
	s_delay_alu instid0(VALU_DEP_3) | instskip(NEXT) | instid1(VALU_DEP_2)
	v_add_f32_e32 v21, v21, v23
	v_fma_f32 v54, -0.5, v13, v54
	v_sub_f32_e32 v13, v12, v49
	v_fmamk_f32 v23, v48, 0x3f5db3d7, v69
	v_dual_fmac_f32 v69, 0xbf5db3d7, v48 :: v_dual_add_f32 v48, v12, v49
	s_delay_alu instid0(VALU_DEP_3) | instskip(NEXT) | instid1(VALU_DEP_2)
	v_fmamk_f32 v12, v13, 0xbf5db3d7, v54
	v_dual_fmac_f32 v54, 0x3f5db3d7, v13 :: v_dual_fmac_f32 v55, -0.5, v48
	v_dual_add_f32 v48, v56, v70 :: v_dual_add_f32 v49, v57, v49
	s_delay_alu instid0(VALU_DEP_2)
	v_fmamk_f32 v13, v58, 0x3f5db3d7, v55
	v_fmac_f32_e32 v55, 0xbf5db3d7, v58
	ds_store_2addr_b64 v107, v[16:17], v[18:19] offset1:26
	ds_store_b64 v107, v[14:15] offset:416
	ds_store_2addr_b64 v106, v[20:21], v[22:23] offset1:26
	ds_store_b64 v106, v[68:69] offset:416
	;; [unrolled: 2-line block ×3, first 2 shown]
	v_add_nc_u32_e32 v14, 0xe00, v97
	v_add_nc_u32_e32 v15, 0x1d00, v97
	global_wb scope:SCOPE_SE
	s_wait_dscnt 0x0
	s_barrier_signal -1
	s_barrier_wait -1
	global_inv scope:SCOPE_SE
	ds_load_2addr_b64 v[16:19], v97 offset1:234
	ds_load_2addr_b64 v[56:59], v14 offset0:20 offset1:254
	ds_load_2addr_b64 v[20:23], v15 offset0:8 offset1:242
	ds_load_b64 v[60:61], v97 offset:11232
	s_and_saveexec_b32 s0, s1
	s_cbranch_execz .LBB0_27
; %bb.26:
	v_add_nc_u32_e32 v12, 0x1400, v97
	v_add_nc_u32_e32 v13, 0x2280, v97
	;; [unrolled: 1-line block ×3, first 2 shown]
	ds_load_2addr_b64 v[52:55], v12 offset0:10 offset1:244
	ds_load_2addr_b64 v[48:51], v13 offset0:14 offset1:248
	;; [unrolled: 1-line block ×3, first 2 shown]
	ds_load_b64 v[85:86], v97 offset:12688
	s_wait_dscnt 0x3
	v_mov_b32_e32 v87, v54
	s_wait_dscnt 0x2
	v_dual_mov_b32 v89, v48 :: v_dual_mov_b32 v88, v55
	s_wait_dscnt 0x1
	v_dual_mov_b32 v90, v49 :: v_dual_mov_b32 v55, v15
	v_mov_b32_e32 v54, v14
.LBB0_27:
	s_wait_alu 0xfffe
	s_or_b32 exec_lo, exec_lo, s0
	s_wait_dscnt 0x3
	v_mul_f32_e32 v14, v33, v19
	v_mul_f32_e32 v15, v33, v18
	s_wait_dscnt 0x2
	v_mul_f32_e32 v33, v35, v57
	v_mul_f32_e32 v35, v35, v56
	global_wb scope:SCOPE_SE
	s_wait_dscnt 0x0
	v_fmac_f32_e32 v14, v32, v18
	v_fma_f32 v15, v32, v19, -v15
	v_mul_f32_e32 v18, v25, v59
	v_mul_f32_e32 v19, v25, v58
	;; [unrolled: 1-line block ×3, first 2 shown]
	v_fmac_f32_e32 v33, v34, v56
	v_fma_f32 v32, v34, v57, -v35
	v_fmac_f32_e32 v18, v24, v58
	s_barrier_signal -1
	v_fmac_f32_e32 v25, v26, v20
	v_mul_f32_e32 v20, v27, v20
	v_fma_f32 v19, v24, v59, -v19
	v_dual_mul_f32 v24, v31, v61 :: v_dual_mul_f32 v27, v29, v23
	s_barrier_wait -1
	s_delay_alu instid0(VALU_DEP_3) | instskip(SKIP_2) | instid1(VALU_DEP_1)
	v_fma_f32 v20, v26, v21, -v20
	global_inv scope:SCOPE_SE
	v_dual_fmac_f32 v24, v30, v60 :: v_dual_mul_f32 v29, v29, v22
	v_dual_fmac_f32 v27, v28, v22 :: v_dual_add_f32 v22, v14, v24
	v_sub_f32_e32 v14, v14, v24
	s_delay_alu instid0(VALU_DEP_3) | instskip(NEXT) | instid1(VALU_DEP_3)
	v_fma_f32 v21, v28, v23, -v29
	v_dual_mul_f32 v31, v31, v60 :: v_dual_add_f32 v24, v33, v27
	v_dual_sub_f32 v27, v33, v27 :: v_dual_add_f32 v28, v18, v25
	s_delay_alu instid0(VALU_DEP_3) | instskip(NEXT) | instid1(VALU_DEP_3)
	v_add_f32_e32 v26, v32, v21
	v_fma_f32 v30, v30, v61, -v31
	v_dual_sub_f32 v21, v32, v21 :: v_dual_sub_f32 v18, v25, v18
	v_add_f32_e32 v29, v19, v20
	s_delay_alu instid0(VALU_DEP_3) | instskip(SKIP_3) | instid1(VALU_DEP_4)
	v_add_f32_e32 v23, v15, v30
	v_sub_f32_e32 v15, v15, v30
	v_sub_f32_e32 v30, v24, v22
	;; [unrolled: 1-line block ×3, first 2 shown]
	v_dual_add_f32 v20, v24, v22 :: v_dual_add_f32 v25, v26, v23
	v_dual_sub_f32 v24, v28, v24 :: v_dual_sub_f32 v31, v26, v23
	v_sub_f32_e32 v22, v22, v28
	s_delay_alu instid0(VALU_DEP_3) | instskip(SKIP_4) | instid1(VALU_DEP_4)
	v_dual_add_f32 v20, v28, v20 :: v_dual_sub_f32 v23, v23, v29
	v_add_f32_e32 v32, v18, v27
	v_dual_sub_f32 v26, v29, v26 :: v_dual_add_f32 v33, v19, v21
	v_dual_sub_f32 v34, v18, v27 :: v_dual_add_f32 v25, v29, v25
	v_dual_sub_f32 v35, v19, v21 :: v_dual_sub_f32 v18, v14, v18
	v_dual_sub_f32 v19, v15, v19 :: v_dual_add_f32 v28, v32, v14
	v_dual_sub_f32 v27, v27, v14 :: v_dual_add_f32 v14, v16, v20
	v_sub_f32_e32 v21, v21, v15
	v_dual_add_f32 v29, v33, v15 :: v_dual_mul_f32 v32, 0x3f08b237, v34
	v_dual_mul_f32 v16, 0x3f4a47b2, v22 :: v_dual_add_f32 v15, v17, v25
	s_delay_alu instid0(VALU_DEP_4) | instskip(SKIP_2) | instid1(VALU_DEP_4)
	v_mul_f32_e32 v34, 0xbf5ff5aa, v27
	v_mul_f32_e32 v22, 0x3d64c772, v24
	v_fmamk_f32 v20, v20, 0xbf955555, v14
	v_fmamk_f32 v24, v24, 0x3d64c772, v16
	;; [unrolled: 1-line block ×3, first 2 shown]
	v_mul_f32_e32 v17, 0x3f4a47b2, v23
	v_mul_f32_e32 v23, 0x3d64c772, v26
	v_fma_f32 v22, 0x3f3bfb3b, v30, -v22
	v_mul_f32_e32 v33, 0x3f08b237, v35
	v_fma_f32 v16, 0xbf3bfb3b, v30, -v16
	v_mul_f32_e32 v35, 0xbf5ff5aa, v21
	v_fmamk_f32 v26, v26, 0x3d64c772, v17
	v_fma_f32 v23, 0x3f3bfb3b, v31, -v23
	v_fma_f32 v27, 0xbf5ff5aa, v27, -v32
	v_add_f32_e32 v22, v22, v20
	v_fmamk_f32 v30, v18, 0xbeae86e6, v32
	v_fma_f32 v32, 0xbf5ff5aa, v21, -v33
	v_add_f32_e32 v48, v26, v25
	v_fma_f32 v17, 0xbf3bfb3b, v31, -v17
	v_fmamk_f32 v31, v19, 0xbeae86e6, v33
	v_fma_f32 v33, 0x3eae86e6, v18, -v34
	v_fma_f32 v34, 0x3eae86e6, v19, -v35
	v_add_f32_e32 v35, v24, v20
	v_add_f32_e32 v24, v16, v20
	v_fmac_f32_e32 v27, 0xbee1c552, v28
	v_dual_add_f32 v23, v23, v25 :: v_dual_fmac_f32 v30, 0xbee1c552, v28
	v_fmac_f32_e32 v34, 0xbee1c552, v29
	v_fmac_f32_e32 v31, 0xbee1c552, v29
	v_dual_fmac_f32 v33, 0xbee1c552, v28 :: v_dual_fmac_f32 v32, 0xbee1c552, v29
	s_delay_alu instid0(VALU_DEP_3) | instskip(SKIP_1) | instid1(VALU_DEP_4)
	v_dual_add_f32 v21, v27, v23 :: v_dual_add_f32 v18, v34, v24
	v_dual_sub_f32 v24, v24, v34 :: v_dual_add_f32 v25, v17, v25
	v_dual_add_f32 v16, v31, v35 :: v_dual_sub_f32 v17, v48, v30
	s_delay_alu instid0(VALU_DEP_4) | instskip(NEXT) | instid1(VALU_DEP_3)
	v_sub_f32_e32 v20, v22, v32
	v_dual_add_f32 v22, v32, v22 :: v_dual_sub_f32 v19, v25, v33
	v_dual_sub_f32 v23, v23, v27 :: v_dual_add_nc_u32 v28, 0x800, v109
	v_dual_add_f32 v25, v33, v25 :: v_dual_sub_f32 v26, v35, v31
	v_add_f32_e32 v27, v30, v48
	ds_store_2addr_b64 v109, v[14:15], v[16:17] offset1:78
	ds_store_2addr_b64 v109, v[18:19], v[20:21] offset0:156 offset1:234
	ds_store_2addr_b64 v28, v[22:23], v[24:25] offset0:56 offset1:134
	ds_store_b64 v109, v[26:27] offset:3744
	s_and_saveexec_b32 s0, s1
	s_cbranch_execz .LBB0_29
; %bb.28:
	v_dual_mul_f32 v14, v5, v55 :: v_dual_mul_f32 v15, v3, v90
	v_dual_mul_f32 v18, v9, v51 :: v_dual_mul_f32 v19, v11, v86
	;; [unrolled: 1-line block ×3, first 2 shown]
	s_delay_alu instid0(VALU_DEP_3) | instskip(NEXT) | instid1(VALU_DEP_3)
	v_dual_fmac_f32 v14, v4, v54 :: v_dual_mul_f32 v3, v3, v89
	v_fmac_f32_e32 v19, v10, v85
	v_mul_f32_e32 v1, v1, v87
	s_delay_alu instid0(VALU_DEP_4) | instskip(SKIP_1) | instid1(VALU_DEP_4)
	v_dual_fmac_f32 v15, v2, v89 :: v_dual_fmac_f32 v16, v0, v87
	v_dual_fmac_f32 v17, v6, v52 :: v_dual_fmac_f32 v18, v8, v50
	v_dual_mul_f32 v11, v11, v85 :: v_dual_sub_f32 v22, v14, v19
	v_fma_f32 v2, v2, v90, -v3
	v_add_f32_e32 v14, v19, v14
	v_fma_f32 v0, v0, v88, -v1
	v_dual_sub_f32 v20, v15, v16 :: v_dual_sub_f32 v21, v17, v18
	v_add_f32_e32 v15, v16, v15
	v_fma_f32 v10, v10, v86, -v11
	s_delay_alu instid0(VALU_DEP_4) | instskip(SKIP_4) | instid1(VALU_DEP_4)
	v_add_f32_e32 v1, v0, v2
	v_mul_f32_e32 v7, v7, v52
	v_mul_f32_e32 v9, v9, v50
	v_add_f32_e32 v17, v18, v17
	v_sub_f32_e32 v2, v2, v0
	v_fma_f32 v6, v6, v53, -v7
	v_add_f32_e32 v7, v20, v21
	s_delay_alu instid0(VALU_DEP_1) | instskip(SKIP_2) | instid1(VALU_DEP_1)
	v_add_f32_e32 v7, v7, v22
	v_sub_f32_e32 v11, v22, v20
	v_mul_f32_e32 v5, v5, v54
	v_fma_f32 v4, v4, v55, -v5
	v_fma_f32 v5, v8, v51, -v9
	s_delay_alu instid0(VALU_DEP_2) | instskip(NEXT) | instid1(VALU_DEP_2)
	v_dual_sub_f32 v23, v20, v21 :: v_dual_add_f32 v8, v10, v4
	v_add_f32_e32 v9, v5, v6
	v_dual_sub_f32 v5, v6, v5 :: v_dual_sub_f32 v4, v4, v10
	v_sub_f32_e32 v21, v21, v22
	s_delay_alu instid0(VALU_DEP_2) | instskip(SKIP_3) | instid1(VALU_DEP_4)
	v_dual_add_f32 v3, v9, v8 :: v_dual_sub_f32 v10, v2, v5
	v_dual_mul_f32 v23, 0x3f08b237, v23 :: v_dual_sub_f32 v24, v8, v1
	v_sub_f32_e32 v18, v1, v9
	v_sub_f32_e32 v8, v9, v8
	v_mul_f32_e32 v10, 0x3f08b237, v10
	s_delay_alu instid0(VALU_DEP_4) | instskip(SKIP_2) | instid1(VALU_DEP_2)
	v_fmamk_f32 v20, v11, 0xbeae86e6, v23
	v_dual_mul_f32 v19, 0x3f4a47b2, v24 :: v_dual_sub_f32 v24, v14, v15
	v_mul_f32_e32 v16, 0x3d64c772, v18
	v_mul_f32_e32 v6, 0x3f4a47b2, v24
	v_sub_f32_e32 v24, v4, v2
	s_delay_alu instid0(VALU_DEP_4) | instskip(SKIP_2) | instid1(VALU_DEP_4)
	v_dual_fmamk_f32 v18, v18, 0x3d64c772, v19 :: v_dual_add_f32 v3, v1, v3
	v_add_f32_e32 v2, v2, v5
	v_fmac_f32_e32 v20, 0xbee1c552, v7
	v_fmamk_f32 v22, v24, 0xbeae86e6, v10
	s_delay_alu instid0(VALU_DEP_4) | instskip(NEXT) | instid1(VALU_DEP_4)
	v_dual_mul_f32 v26, 0xbf5ff5aa, v21 :: v_dual_add_f32 v1, v13, v3
	v_dual_add_f32 v13, v17, v14 :: v_dual_add_f32 v2, v2, v4
	s_delay_alu instid0(VALU_DEP_2) | instskip(NEXT) | instid1(VALU_DEP_3)
	v_fma_f32 v11, 0x3eae86e6, v11, -v26
	v_fmamk_f32 v25, v3, 0xbf955555, v1
	s_delay_alu instid0(VALU_DEP_3) | instskip(NEXT) | instid1(VALU_DEP_1)
	v_dual_add_f32 v3, v15, v13 :: v_dual_fmac_f32 v22, 0xbee1c552, v2
	v_add_f32_e32 v0, v12, v3
	s_delay_alu instid0(VALU_DEP_3) | instskip(SKIP_2) | instid1(VALU_DEP_4)
	v_dual_add_f32 v12, v18, v25 :: v_dual_sub_f32 v9, v17, v14
	v_sub_f32_e32 v14, v5, v4
	v_fma_f32 v5, 0xbf3bfb3b, v8, -v19
	v_fmamk_f32 v18, v3, 0xbf955555, v0
	v_sub_f32_e32 v13, v15, v17
	v_add_f32_e32 v3, v20, v12
	v_mul_f32_e32 v17, 0xbf5ff5aa, v14
	v_add_f32_e32 v19, v5, v25
	v_fma_f32 v4, 0x3f3bfb3b, v8, -v16
	v_fmamk_f32 v15, v13, 0x3d64c772, v6
	v_mul_f32_e32 v13, 0x3d64c772, v13
	v_fma_f32 v6, 0xbf3bfb3b, v9, -v6
	v_fma_f32 v17, 0x3eae86e6, v24, -v17
	;; [unrolled: 1-line block ×4, first 2 shown]
	v_lshlrev_b32_e32 v14, 3, v108
	v_fma_f32 v5, 0x3f3bfb3b, v9, -v13
	v_dual_fmac_f32 v11, 0xbee1c552, v7 :: v_dual_add_f32 v26, v6, v18
	s_delay_alu instid0(VALU_DEP_4) | instskip(SKIP_4) | instid1(VALU_DEP_4)
	v_fmac_f32_e32 v10, 0xbee1c552, v2
	v_fmac_f32_e32 v17, 0xbee1c552, v2
	v_dual_add_f32 v15, v15, v18 :: v_dual_fmac_f32 v8, 0xbee1c552, v7
	v_add_f32_e32 v13, v5, v18
	v_add_f32_e32 v9, v4, v25
	v_sub_f32_e32 v4, v26, v17
	v_dual_add_f32 v5, v11, v19 :: v_dual_add_nc_u32 v16, 0x2000, v14
	s_delay_alu instid0(VALU_DEP_3)
	v_dual_add_f32 v6, v10, v13 :: v_dual_sub_f32 v7, v9, v8
	v_dual_add_f32 v9, v8, v9 :: v_dual_add_nc_u32 v18, 0x2800, v14
	v_dual_sub_f32 v8, v13, v10 :: v_dual_sub_f32 v13, v12, v20
	v_sub_f32_e32 v2, v15, v22
	v_add_f32_e32 v12, v22, v15
	v_dual_sub_f32 v11, v19, v11 :: v_dual_add_f32 v10, v17, v26
	v_add_nc_u32_e32 v17, 0x2400, v14
	ds_store_2addr_b64 v16, v[0:1], v[12:13] offset0:68 offset1:146
	ds_store_2addr_b64 v17, v[10:11], v[8:9] offset0:96 offset1:174
	;; [unrolled: 1-line block ×3, first 2 shown]
	ds_store_b64 v14, v[2:3] offset:12480
.LBB0_29:
	s_wait_alu 0xfffe
	s_or_b32 exec_lo, exec_lo, s0
	global_wb scope:SCOPE_SE
	s_wait_dscnt 0x0
	s_barrier_signal -1
	s_barrier_wait -1
	global_inv scope:SCOPE_SE
	ds_load_b64 v[17:18], v97 offset:11648
	v_add_nc_u32_e32 v19, 0xa00, v97
	v_add_nc_u32_e32 v0, 0x2000, v97
	s_wait_dscnt 0x0
	v_dual_mul_f32 v21, v43, v18 :: v_dual_add_nc_u32 v20, 0x1600, v97
	ds_load_2addr_b64 v[1:4], v19 offset0:44 offset1:226
	ds_load_2addr_b64 v[5:8], v0 offset0:68 offset1:250
	;; [unrolled: 1-line block ×3, first 2 shown]
	ds_load_2addr_b64 v[13:16], v97 offset1:182
	v_mul_f32_e32 v22, v43, v17
	s_wait_dscnt 0x3
	v_dual_fmac_f32 v21, v42, v17 :: v_dual_mul_f32 v24, v37, v3
	s_wait_dscnt 0x1
	v_dual_mul_f32 v26, v39, v5 :: v_dual_mul_f32 v31, v41, v12
	v_mul_f32_e32 v23, v37, v4
	v_dual_mul_f32 v25, v39, v6 :: v_dual_mul_f32 v28, v45, v9
	v_mul_f32_e32 v27, v45, v10
	v_dual_mul_f32 v29, v47, v8 :: v_dual_mul_f32 v32, v41, v11
	v_fma_f32 v4, v36, v4, -v24
	v_fma_f32 v6, v38, v6, -v26
	v_dual_mul_f32 v30, v47, v7 :: v_dual_fmac_f32 v25, v38, v5
	v_fmac_f32_e32 v27, v44, v9
	v_fma_f32 v10, v44, v10, -v28
	v_fmac_f32_e32 v29, v46, v7
	v_add_f32_e32 v7, v4, v6
	s_wait_dscnt 0x0
	v_add_f32_e32 v9, v14, v4
	v_fmac_f32_e32 v23, v36, v3
	v_fma_f32 v17, v46, v8, -v30
	v_fmac_f32_e32 v31, v40, v11
	v_sub_f32_e32 v8, v4, v6
	v_fma_f32 v4, -0.5, v7, v14
	v_dual_add_f32 v6, v9, v6 :: v_dual_sub_f32 v11, v23, v25
	v_add_f32_e32 v3, v23, v25
	v_fma_f32 v18, v42, v18, -v22
	v_fma_f32 v22, v40, v12, -v32
	v_add_f32_e32 v5, v13, v23
	s_delay_alu instid0(VALU_DEP_4) | instskip(SKIP_1) | instid1(VALU_DEP_4)
	v_fma_f32 v3, -0.5, v3, v13
	v_sub_f32_e32 v13, v10, v17
	v_sub_f32_e32 v23, v22, v18
	s_delay_alu instid0(VALU_DEP_3)
	v_fmamk_f32 v7, v8, 0xbf5db3d7, v3
	v_dual_fmac_f32 v3, 0x3f5db3d7, v8 :: v_dual_fmamk_f32 v8, v11, 0x3f5db3d7, v4
	v_dual_fmac_f32 v4, 0xbf5db3d7, v11 :: v_dual_add_f32 v11, v10, v17
	v_add_f32_e32 v12, v15, v27
	v_dual_add_f32 v10, v16, v10 :: v_dual_add_f32 v9, v27, v29
	v_sub_f32_e32 v14, v27, v29
	s_delay_alu instid0(VALU_DEP_4) | instskip(SKIP_1) | instid1(VALU_DEP_4)
	v_fmac_f32_e32 v16, -0.5, v11
	v_sub_f32_e32 v24, v31, v21
	v_add_f32_e32 v10, v10, v17
	v_add_f32_e32 v5, v5, v25
	v_fma_f32 v15, -0.5, v9, v15
	v_dual_add_f32 v9, v12, v29 :: v_dual_fmamk_f32 v12, v14, 0x3f5db3d7, v16
	v_fmac_f32_e32 v16, 0xbf5db3d7, v14
	v_dual_add_f32 v14, v22, v18 :: v_dual_add_f32 v17, v1, v31
	v_add_f32_e32 v22, v2, v22
	s_delay_alu instid0(VALU_DEP_2) | instskip(NEXT) | instid1(VALU_DEP_2)
	v_fmac_f32_e32 v2, -0.5, v14
	v_add_f32_e32 v14, v22, v18
	s_delay_alu instid0(VALU_DEP_2) | instskip(SKIP_3) | instid1(VALU_DEP_1)
	v_fmamk_f32 v18, v24, 0x3f5db3d7, v2
	v_dual_fmac_f32 v2, 0xbf5db3d7, v24 :: v_dual_fmamk_f32 v11, v13, 0xbf5db3d7, v15
	v_fmac_f32_e32 v15, 0x3f5db3d7, v13
	v_add_f32_e32 v13, v31, v21
	v_fma_f32 v1, -0.5, v13, v1
	v_add_f32_e32 v13, v17, v21
	s_delay_alu instid0(VALU_DEP_2)
	v_fmamk_f32 v17, v23, 0xbf5db3d7, v1
	v_fmac_f32_e32 v1, 0x3f5db3d7, v23
	ds_store_2addr_b64 v97, v[5:6], v[9:10] offset1:182
	ds_store_2addr_b64 v0, v[3:4], v[15:16] offset0:68 offset1:250
	ds_store_2addr_b64 v19, v[13:14], v[7:8] offset0:44 offset1:226
	;; [unrolled: 1-line block ×3, first 2 shown]
	ds_store_b64 v97, v[1:2] offset:11648
	global_wb scope:SCOPE_SE
	s_wait_dscnt 0x0
	s_barrier_signal -1
	s_barrier_wait -1
	global_inv scope:SCOPE_SE
	s_and_b32 exec_lo, exec_lo, vcc_lo
	s_cbranch_execz .LBB0_31
; %bb.30:
	s_clause 0xb
	global_load_b64 v[25:26], v97, s[8:9]
	global_load_b64 v[27:28], v97, s[8:9] offset:1008
	global_load_b64 v[29:30], v97, s[8:9] offset:2016
	global_load_b64 v[31:32], v97, s[8:9] offset:3024
	global_load_b64 v[33:34], v97, s[8:9] offset:4032
	global_load_b64 v[35:36], v97, s[8:9] offset:5040
	global_load_b64 v[37:38], v97, s[8:9] offset:6048
	global_load_b64 v[39:40], v97, s[8:9] offset:7056
	global_load_b64 v[41:42], v97, s[8:9] offset:8064
	global_load_b64 v[43:44], v97, s[8:9] offset:9072
	global_load_b64 v[45:46], v97, s[8:9] offset:10080
	global_load_b64 v[47:48], v97, s[8:9] offset:11088
	v_mad_co_u64_u32 v[13:14], null, s6, v74, 0
	v_mad_co_u64_u32 v[49:50], null, s4, v98, 0
	ds_load_b64 v[51:52], v97
	s_mov_b32 s2, 0x14014014
	s_mov_b32 s3, 0x3f440140
	v_dual_mov_b32 v1, v14 :: v_dual_add_nc_u32 v6, 0x800, v97
	s_mul_u64 s[0:1], s[4:5], 0x3f0
	v_mov_b32_e32 v5, v50
	v_add_nc_u32_e32 v17, 0x1800, v97
	s_delay_alu instid0(VALU_DEP_3) | instskip(SKIP_1) | instid1(VALU_DEP_4)
	v_mad_co_u64_u32 v[9:10], null, s7, v74, v[1:2]
	v_add_nc_u32_e32 v10, 0x1000, v97
	v_mad_co_u64_u32 v[15:16], null, s5, v98, v[5:6]
	ds_load_2addr_b64 v[1:4], v97 offset0:126 offset1:252
	ds_load_2addr_b64 v[5:8], v6 offset0:122 offset1:248
	v_dual_mov_b32 v14, v9 :: v_dual_add_nc_u32 v21, 0x2800, v97
	ds_load_2addr_b64 v[9:12], v10 offset0:118 offset1:244
	v_mov_b32_e32 v50, v15
	v_lshlrev_b64_e32 v[53:54], 3, v[13:14]
	ds_load_2addr_b64 v[13:16], v0 offset0:110 offset1:236
	ds_load_2addr_b64 v[17:20], v17 offset0:114 offset1:240
	;; [unrolled: 1-line block ×3, first 2 shown]
	v_lshlrev_b64_e32 v[49:50], 3, v[49:50]
	v_add_co_u32 v53, vcc_lo, s12, v53
	v_add_co_ci_u32_e32 v54, vcc_lo, s13, v54, vcc_lo
	s_delay_alu instid0(VALU_DEP_2) | instskip(SKIP_1) | instid1(VALU_DEP_2)
	v_add_co_u32 v49, vcc_lo, v53, v49
	s_wait_alu 0xfffd
	v_add_co_ci_u32_e32 v50, vcc_lo, v54, v50, vcc_lo
	s_wait_alu 0xfffe
	s_delay_alu instid0(VALU_DEP_2) | instskip(SKIP_1) | instid1(VALU_DEP_2)
	v_add_co_u32 v53, vcc_lo, v49, s0
	s_wait_alu 0xfffd
	v_add_co_ci_u32_e32 v54, vcc_lo, s1, v50, vcc_lo
	s_wait_loadcnt_dscnt 0xa05
	v_dual_mul_f32 v0, v52, v26 :: v_dual_mul_f32 v55, v2, v28
	s_wait_loadcnt_dscnt 0x804
	v_dual_mul_f32 v26, v51, v26 :: v_dual_mul_f32 v57, v6, v32
	v_mul_f32_e32 v28, v1, v28
	s_wait_loadcnt_dscnt 0x603
	v_dual_mul_f32 v56, v4, v30 :: v_dual_mul_f32 v59, v10, v36
	s_wait_loadcnt_dscnt 0x401
	v_dual_mul_f32 v30, v3, v30 :: v_dual_mul_f32 v61, v18, v40
	v_mul_f32_e32 v32, v5, v32
	s_wait_loadcnt 0x2
	v_dual_mul_f32 v58, v8, v34 :: v_dual_mul_f32 v63, v14, v44
	s_wait_loadcnt_dscnt 0x0
	v_dual_mul_f32 v34, v7, v34 :: v_dual_mul_f32 v65, v22, v48
	v_mul_f32_e32 v36, v9, v36
	v_fmac_f32_e32 v0, v51, v25
	v_fma_f32 v25, v25, v52, -v26
	v_dual_mul_f32 v60, v12, v38 :: v_dual_fmac_f32 v55, v1, v27
	v_dual_mul_f32 v38, v11, v38 :: v_dual_fmac_f32 v57, v5, v31
	v_fma_f32 v26, v27, v2, -v28
	v_mul_f32_e32 v40, v17, v40
	v_fmac_f32_e32 v56, v3, v29
	v_fma_f32 v27, v29, v4, -v30
	v_dual_mul_f32 v62, v20, v42 :: v_dual_fmac_f32 v59, v9, v35
	v_dual_mul_f32 v42, v19, v42 :: v_dual_fmac_f32 v61, v17, v39
	v_mul_f32_e32 v44, v13, v44
	v_dual_mul_f32 v64, v16, v46 :: v_dual_fmac_f32 v63, v13, v43
	v_fma_f32 v28, v31, v6, -v32
	v_dual_mul_f32 v46, v15, v46 :: v_dual_fmac_f32 v65, v21, v47
	v_fmac_f32_e32 v58, v7, v33
	v_fma_f32 v29, v33, v8, -v34
	v_fma_f32 v30, v35, v10, -v36
	v_cvt_f64_f32_e32 v[0:1], v0
	v_cvt_f64_f32_e32 v[2:3], v25
	v_mul_f32_e32 v48, v21, v48
	v_fmac_f32_e32 v60, v11, v37
	v_fma_f32 v31, v37, v12, -v38
	v_cvt_f64_f32_e32 v[4:5], v55
	v_cvt_f64_f32_e32 v[6:7], v26
	v_fma_f32 v33, v39, v18, -v40
	v_cvt_f64_f32_e32 v[8:9], v56
	v_cvt_f64_f32_e32 v[10:11], v27
	v_fmac_f32_e32 v62, v19, v41
	v_fma_f32 v37, v41, v20, -v42
	v_fma_f32 v41, v43, v14, -v44
	v_fmac_f32_e32 v64, v15, v45
	v_cvt_f64_f32_e32 v[12:13], v57
	v_cvt_f64_f32_e32 v[14:15], v28
	v_fma_f32 v45, v45, v16, -v46
	v_cvt_f64_f32_e32 v[16:17], v58
	v_cvt_f64_f32_e32 v[18:19], v29
	;; [unrolled: 1-line block ×4, first 2 shown]
	v_fma_f32 v22, v47, v22, -v48
	v_cvt_f64_f32_e32 v[27:28], v60
	v_cvt_f64_f32_e32 v[29:30], v31
	;; [unrolled: 1-line block ×12, first 2 shown]
	v_add_co_u32 v55, vcc_lo, v53, s0
	s_wait_alu 0xfffd
	v_add_co_ci_u32_e32 v56, vcc_lo, s1, v54, vcc_lo
	v_mul_f64_e32 v[0:1], s[2:3], v[0:1]
	v_mul_f64_e32 v[2:3], s[2:3], v[2:3]
	v_add_co_u32 v57, vcc_lo, v55, s0
	s_wait_alu 0xfffd
	v_add_co_ci_u32_e32 v58, vcc_lo, s1, v56, vcc_lo
	v_mul_f64_e32 v[4:5], s[2:3], v[4:5]
	v_mul_f64_e32 v[6:7], s[2:3], v[6:7]
	;; [unrolled: 1-line block ×4, first 2 shown]
	v_add_co_u32 v59, vcc_lo, v57, s0
	s_wait_alu 0xfffd
	v_add_co_ci_u32_e32 v60, vcc_lo, s1, v58, vcc_lo
	v_mul_f64_e32 v[12:13], s[2:3], v[12:13]
	v_mul_f64_e32 v[14:15], s[2:3], v[14:15]
	v_add_co_u32 v61, vcc_lo, v59, s0
	v_mul_f64_e32 v[16:17], s[2:3], v[16:17]
	v_mul_f64_e32 v[18:19], s[2:3], v[18:19]
	;; [unrolled: 1-line block ×16, first 2 shown]
	s_wait_alu 0xfffd
	v_add_co_ci_u32_e32 v62, vcc_lo, s1, v60, vcc_lo
	v_cvt_f32_f64_e32 v0, v[0:1]
	v_cvt_f32_f64_e32 v1, v[2:3]
	;; [unrolled: 1-line block ×24, first 2 shown]
	v_add_co_u32 v27, vcc_lo, v61, s0
	s_wait_alu 0xfffd
	v_add_co_ci_u32_e32 v28, vcc_lo, s1, v62, vcc_lo
	s_delay_alu instid0(VALU_DEP_2) | instskip(SKIP_1) | instid1(VALU_DEP_2)
	v_add_co_u32 v29, vcc_lo, v27, s0
	s_wait_alu 0xfffd
	v_add_co_ci_u32_e32 v30, vcc_lo, s1, v28, vcc_lo
	s_delay_alu instid0(VALU_DEP_2) | instskip(SKIP_1) | instid1(VALU_DEP_2)
	;; [unrolled: 4-line block ×5, first 2 shown]
	v_add_co_u32 v37, vcc_lo, v35, s0
	s_wait_alu 0xfffd
	v_add_co_ci_u32_e32 v38, vcc_lo, s1, v36, vcc_lo
	s_clause 0x4
	global_store_b64 v[49:50], v[0:1], off
	global_store_b64 v[53:54], v[2:3], off
	;; [unrolled: 1-line block ×12, first 2 shown]
	global_load_b64 v[0:1], v97, s[8:9] offset:12096
	s_wait_loadcnt 0x0
	v_mul_f32_e32 v2, v24, v1
	v_mul_f32_e32 v1, v23, v1
	s_delay_alu instid0(VALU_DEP_2) | instskip(NEXT) | instid1(VALU_DEP_2)
	v_fmac_f32_e32 v2, v23, v0
	v_fma_f32 v3, v0, v24, -v1
	s_delay_alu instid0(VALU_DEP_2) | instskip(NEXT) | instid1(VALU_DEP_2)
	v_cvt_f64_f32_e32 v[0:1], v2
	v_cvt_f64_f32_e32 v[2:3], v3
	s_delay_alu instid0(VALU_DEP_2) | instskip(NEXT) | instid1(VALU_DEP_2)
	v_mul_f64_e32 v[0:1], s[2:3], v[0:1]
	v_mul_f64_e32 v[2:3], s[2:3], v[2:3]
	s_delay_alu instid0(VALU_DEP_2) | instskip(NEXT) | instid1(VALU_DEP_2)
	v_cvt_f32_f64_e32 v0, v[0:1]
	v_cvt_f32_f64_e32 v1, v[2:3]
	v_add_co_u32 v2, vcc_lo, v37, s0
	s_wait_alu 0xfffd
	v_add_co_ci_u32_e32 v3, vcc_lo, s1, v38, vcc_lo
	global_store_b64 v[2:3], v[0:1], off
.LBB0_31:
	s_nop 0
	s_sendmsg sendmsg(MSG_DEALLOC_VGPRS)
	s_endpgm
	.section	.rodata,"a",@progbits
	.p2align	6, 0x0
	.amdhsa_kernel bluestein_single_back_len1638_dim1_sp_op_CI_CI
		.amdhsa_group_segment_fixed_size 13104
		.amdhsa_private_segment_fixed_size 0
		.amdhsa_kernarg_size 104
		.amdhsa_user_sgpr_count 2
		.amdhsa_user_sgpr_dispatch_ptr 0
		.amdhsa_user_sgpr_queue_ptr 0
		.amdhsa_user_sgpr_kernarg_segment_ptr 1
		.amdhsa_user_sgpr_dispatch_id 0
		.amdhsa_user_sgpr_private_segment_size 0
		.amdhsa_wavefront_size32 1
		.amdhsa_uses_dynamic_stack 0
		.amdhsa_enable_private_segment 0
		.amdhsa_system_sgpr_workgroup_id_x 1
		.amdhsa_system_sgpr_workgroup_id_y 0
		.amdhsa_system_sgpr_workgroup_id_z 0
		.amdhsa_system_sgpr_workgroup_info 0
		.amdhsa_system_vgpr_workitem_id 0
		.amdhsa_next_free_vgpr 199
		.amdhsa_next_free_sgpr 14
		.amdhsa_reserve_vcc 1
		.amdhsa_float_round_mode_32 0
		.amdhsa_float_round_mode_16_64 0
		.amdhsa_float_denorm_mode_32 3
		.amdhsa_float_denorm_mode_16_64 3
		.amdhsa_fp16_overflow 0
		.amdhsa_workgroup_processor_mode 1
		.amdhsa_memory_ordered 1
		.amdhsa_forward_progress 0
		.amdhsa_round_robin_scheduling 0
		.amdhsa_exception_fp_ieee_invalid_op 0
		.amdhsa_exception_fp_denorm_src 0
		.amdhsa_exception_fp_ieee_div_zero 0
		.amdhsa_exception_fp_ieee_overflow 0
		.amdhsa_exception_fp_ieee_underflow 0
		.amdhsa_exception_fp_ieee_inexact 0
		.amdhsa_exception_int_div_zero 0
	.end_amdhsa_kernel
	.text
.Lfunc_end0:
	.size	bluestein_single_back_len1638_dim1_sp_op_CI_CI, .Lfunc_end0-bluestein_single_back_len1638_dim1_sp_op_CI_CI
                                        ; -- End function
	.section	.AMDGPU.csdata,"",@progbits
; Kernel info:
; codeLenInByte = 17708
; NumSgprs: 16
; NumVgprs: 199
; ScratchSize: 0
; MemoryBound: 0
; FloatMode: 240
; IeeeMode: 1
; LDSByteSize: 13104 bytes/workgroup (compile time only)
; SGPRBlocks: 1
; VGPRBlocks: 24
; NumSGPRsForWavesPerEU: 16
; NumVGPRsForWavesPerEU: 199
; Occupancy: 7
; WaveLimiterHint : 1
; COMPUTE_PGM_RSRC2:SCRATCH_EN: 0
; COMPUTE_PGM_RSRC2:USER_SGPR: 2
; COMPUTE_PGM_RSRC2:TRAP_HANDLER: 0
; COMPUTE_PGM_RSRC2:TGID_X_EN: 1
; COMPUTE_PGM_RSRC2:TGID_Y_EN: 0
; COMPUTE_PGM_RSRC2:TGID_Z_EN: 0
; COMPUTE_PGM_RSRC2:TIDIG_COMP_CNT: 0
	.text
	.p2alignl 7, 3214868480
	.fill 96, 4, 3214868480
	.type	__hip_cuid_814bd399f00fd167,@object ; @__hip_cuid_814bd399f00fd167
	.section	.bss,"aw",@nobits
	.globl	__hip_cuid_814bd399f00fd167
__hip_cuid_814bd399f00fd167:
	.byte	0                               ; 0x0
	.size	__hip_cuid_814bd399f00fd167, 1

	.ident	"AMD clang version 19.0.0git (https://github.com/RadeonOpenCompute/llvm-project roc-6.4.0 25133 c7fe45cf4b819c5991fe208aaa96edf142730f1d)"
	.section	".note.GNU-stack","",@progbits
	.addrsig
	.addrsig_sym __hip_cuid_814bd399f00fd167
	.amdgpu_metadata
---
amdhsa.kernels:
  - .args:
      - .actual_access:  read_only
        .address_space:  global
        .offset:         0
        .size:           8
        .value_kind:     global_buffer
      - .actual_access:  read_only
        .address_space:  global
        .offset:         8
        .size:           8
        .value_kind:     global_buffer
      - .actual_access:  read_only
        .address_space:  global
        .offset:         16
        .size:           8
        .value_kind:     global_buffer
      - .actual_access:  read_only
        .address_space:  global
        .offset:         24
        .size:           8
        .value_kind:     global_buffer
      - .actual_access:  read_only
        .address_space:  global
        .offset:         32
        .size:           8
        .value_kind:     global_buffer
      - .offset:         40
        .size:           8
        .value_kind:     by_value
      - .address_space:  global
        .offset:         48
        .size:           8
        .value_kind:     global_buffer
      - .address_space:  global
        .offset:         56
        .size:           8
        .value_kind:     global_buffer
      - .address_space:  global
        .offset:         64
        .size:           8
        .value_kind:     global_buffer
      - .address_space:  global
        .offset:         72
        .size:           8
        .value_kind:     global_buffer
      - .offset:         80
        .size:           4
        .value_kind:     by_value
      - .address_space:  global
        .offset:         88
        .size:           8
        .value_kind:     global_buffer
      - .address_space:  global
        .offset:         96
        .size:           8
        .value_kind:     global_buffer
    .group_segment_fixed_size: 13104
    .kernarg_segment_align: 8
    .kernarg_segment_size: 104
    .language:       OpenCL C
    .language_version:
      - 2
      - 0
    .max_flat_workgroup_size: 182
    .name:           bluestein_single_back_len1638_dim1_sp_op_CI_CI
    .private_segment_fixed_size: 0
    .sgpr_count:     16
    .sgpr_spill_count: 0
    .symbol:         bluestein_single_back_len1638_dim1_sp_op_CI_CI.kd
    .uniform_work_group_size: 1
    .uses_dynamic_stack: false
    .vgpr_count:     199
    .vgpr_spill_count: 0
    .wavefront_size: 32
    .workgroup_processor_mode: 1
amdhsa.target:   amdgcn-amd-amdhsa--gfx1201
amdhsa.version:
  - 1
  - 2
...

	.end_amdgpu_metadata
